;; amdgpu-corpus repo=ROCm/rocFFT kind=compiled arch=gfx1100 opt=O3
	.text
	.amdgcn_target "amdgcn-amd-amdhsa--gfx1100"
	.amdhsa_code_object_version 6
	.protected	fft_rtc_back_len1920_factors_10_6_16_2_wgs_240_tpt_120_halfLds_sp_op_CI_CI_unitstride_sbrr_dirReg ; -- Begin function fft_rtc_back_len1920_factors_10_6_16_2_wgs_240_tpt_120_halfLds_sp_op_CI_CI_unitstride_sbrr_dirReg
	.globl	fft_rtc_back_len1920_factors_10_6_16_2_wgs_240_tpt_120_halfLds_sp_op_CI_CI_unitstride_sbrr_dirReg
	.p2align	8
	.type	fft_rtc_back_len1920_factors_10_6_16_2_wgs_240_tpt_120_halfLds_sp_op_CI_CI_unitstride_sbrr_dirReg,@function
fft_rtc_back_len1920_factors_10_6_16_2_wgs_240_tpt_120_halfLds_sp_op_CI_CI_unitstride_sbrr_dirReg: ; @fft_rtc_back_len1920_factors_10_6_16_2_wgs_240_tpt_120_halfLds_sp_op_CI_CI_unitstride_sbrr_dirReg
; %bb.0:
	s_clause 0x2
	s_load_b128 s[8:11], s[0:1], 0x0
	s_load_b128 s[4:7], s[0:1], 0x58
	;; [unrolled: 1-line block ×3, first 2 shown]
	v_mul_u32_u24_e32 v1, 0x223, v0
	v_mov_b32_e32 v3, 0
	v_mov_b32_e32 v31, 0
	;; [unrolled: 1-line block ×3, first 2 shown]
	s_delay_alu instid0(VALU_DEP_4) | instskip(NEXT) | instid1(VALU_DEP_4)
	v_lshrrev_b32_e32 v54, 16, v1
	v_mov_b32_e32 v8, v3
	s_delay_alu instid0(VALU_DEP_2) | instskip(SKIP_2) | instid1(VALU_DEP_1)
	v_lshl_add_u32 v7, s15, 1, v54
	s_waitcnt lgkmcnt(0)
	v_cmp_lt_u64_e64 s2, s[10:11], 2
	s_and_b32 vcc_lo, exec_lo, s2
	s_cbranch_vccnz .LBB0_8
; %bb.1:
	s_load_b64 s[2:3], s[0:1], 0x10
	v_mov_b32_e32 v31, 0
	v_mov_b32_e32 v32, 0
	s_add_u32 s12, s18, 8
	s_addc_u32 s13, s19, 0
	s_add_u32 s14, s16, 8
	s_delay_alu instid0(VALU_DEP_1)
	v_dual_mov_b32 v1, v31 :: v_dual_mov_b32 v2, v32
	s_addc_u32 s15, s17, 0
	s_mov_b64 s[22:23], 1
	s_waitcnt lgkmcnt(0)
	s_add_u32 s20, s2, 8
	s_addc_u32 s21, s3, 0
.LBB0_2:                                ; =>This Inner Loop Header: Depth=1
	s_load_b64 s[24:25], s[20:21], 0x0
                                        ; implicit-def: $vgpr5_vgpr6
	s_mov_b32 s2, exec_lo
	s_waitcnt lgkmcnt(0)
	v_or_b32_e32 v4, s25, v8
	s_delay_alu instid0(VALU_DEP_1)
	v_cmpx_ne_u64_e32 0, v[3:4]
	s_xor_b32 s3, exec_lo, s2
	s_cbranch_execz .LBB0_4
; %bb.3:                                ;   in Loop: Header=BB0_2 Depth=1
	v_cvt_f32_u32_e32 v4, s24
	v_cvt_f32_u32_e32 v5, s25
	s_sub_u32 s2, 0, s24
	s_subb_u32 s26, 0, s25
	s_delay_alu instid0(VALU_DEP_1) | instskip(NEXT) | instid1(VALU_DEP_1)
	v_fmac_f32_e32 v4, 0x4f800000, v5
	v_rcp_f32_e32 v4, v4
	s_waitcnt_depctr 0xfff
	v_mul_f32_e32 v4, 0x5f7ffffc, v4
	s_delay_alu instid0(VALU_DEP_1) | instskip(NEXT) | instid1(VALU_DEP_1)
	v_mul_f32_e32 v5, 0x2f800000, v4
	v_trunc_f32_e32 v5, v5
	s_delay_alu instid0(VALU_DEP_1) | instskip(SKIP_1) | instid1(VALU_DEP_2)
	v_fmac_f32_e32 v4, 0xcf800000, v5
	v_cvt_u32_f32_e32 v5, v5
	v_cvt_u32_f32_e32 v4, v4
	s_delay_alu instid0(VALU_DEP_2) | instskip(NEXT) | instid1(VALU_DEP_2)
	v_mul_lo_u32 v6, s2, v5
	v_mul_hi_u32 v9, s2, v4
	v_mul_lo_u32 v10, s26, v4
	s_delay_alu instid0(VALU_DEP_2) | instskip(SKIP_1) | instid1(VALU_DEP_2)
	v_add_nc_u32_e32 v6, v9, v6
	v_mul_lo_u32 v9, s2, v4
	v_add_nc_u32_e32 v6, v6, v10
	s_delay_alu instid0(VALU_DEP_2) | instskip(NEXT) | instid1(VALU_DEP_2)
	v_mul_hi_u32 v10, v4, v9
	v_mul_lo_u32 v11, v4, v6
	v_mul_hi_u32 v12, v4, v6
	v_mul_hi_u32 v13, v5, v9
	v_mul_lo_u32 v9, v5, v9
	v_mul_hi_u32 v14, v5, v6
	v_mul_lo_u32 v6, v5, v6
	v_add_co_u32 v10, vcc_lo, v10, v11
	v_add_co_ci_u32_e32 v11, vcc_lo, 0, v12, vcc_lo
	s_delay_alu instid0(VALU_DEP_2) | instskip(NEXT) | instid1(VALU_DEP_2)
	v_add_co_u32 v9, vcc_lo, v10, v9
	v_add_co_ci_u32_e32 v9, vcc_lo, v11, v13, vcc_lo
	v_add_co_ci_u32_e32 v10, vcc_lo, 0, v14, vcc_lo
	s_delay_alu instid0(VALU_DEP_2) | instskip(NEXT) | instid1(VALU_DEP_2)
	v_add_co_u32 v6, vcc_lo, v9, v6
	v_add_co_ci_u32_e32 v9, vcc_lo, 0, v10, vcc_lo
	s_delay_alu instid0(VALU_DEP_2) | instskip(NEXT) | instid1(VALU_DEP_2)
	v_add_co_u32 v4, vcc_lo, v4, v6
	v_add_co_ci_u32_e32 v5, vcc_lo, v5, v9, vcc_lo
	s_delay_alu instid0(VALU_DEP_2) | instskip(SKIP_1) | instid1(VALU_DEP_3)
	v_mul_hi_u32 v6, s2, v4
	v_mul_lo_u32 v10, s26, v4
	v_mul_lo_u32 v9, s2, v5
	s_delay_alu instid0(VALU_DEP_1) | instskip(SKIP_1) | instid1(VALU_DEP_2)
	v_add_nc_u32_e32 v6, v6, v9
	v_mul_lo_u32 v9, s2, v4
	v_add_nc_u32_e32 v6, v6, v10
	s_delay_alu instid0(VALU_DEP_2) | instskip(NEXT) | instid1(VALU_DEP_2)
	v_mul_hi_u32 v10, v4, v9
	v_mul_lo_u32 v11, v4, v6
	v_mul_hi_u32 v12, v4, v6
	v_mul_hi_u32 v13, v5, v9
	v_mul_lo_u32 v9, v5, v9
	v_mul_hi_u32 v14, v5, v6
	v_mul_lo_u32 v6, v5, v6
	v_add_co_u32 v10, vcc_lo, v10, v11
	v_add_co_ci_u32_e32 v11, vcc_lo, 0, v12, vcc_lo
	s_delay_alu instid0(VALU_DEP_2) | instskip(NEXT) | instid1(VALU_DEP_2)
	v_add_co_u32 v9, vcc_lo, v10, v9
	v_add_co_ci_u32_e32 v9, vcc_lo, v11, v13, vcc_lo
	v_add_co_ci_u32_e32 v10, vcc_lo, 0, v14, vcc_lo
	s_delay_alu instid0(VALU_DEP_2) | instskip(NEXT) | instid1(VALU_DEP_2)
	v_add_co_u32 v6, vcc_lo, v9, v6
	v_add_co_ci_u32_e32 v9, vcc_lo, 0, v10, vcc_lo
	s_delay_alu instid0(VALU_DEP_2) | instskip(NEXT) | instid1(VALU_DEP_2)
	v_add_co_u32 v6, vcc_lo, v4, v6
	v_add_co_ci_u32_e32 v13, vcc_lo, v5, v9, vcc_lo
	s_delay_alu instid0(VALU_DEP_2) | instskip(SKIP_1) | instid1(VALU_DEP_3)
	v_mul_hi_u32 v14, v7, v6
	v_mad_u64_u32 v[9:10], null, v8, v6, 0
	v_mad_u64_u32 v[4:5], null, v7, v13, 0
	;; [unrolled: 1-line block ×3, first 2 shown]
	s_delay_alu instid0(VALU_DEP_2) | instskip(NEXT) | instid1(VALU_DEP_3)
	v_add_co_u32 v4, vcc_lo, v14, v4
	v_add_co_ci_u32_e32 v5, vcc_lo, 0, v5, vcc_lo
	s_delay_alu instid0(VALU_DEP_2) | instskip(NEXT) | instid1(VALU_DEP_2)
	v_add_co_u32 v4, vcc_lo, v4, v9
	v_add_co_ci_u32_e32 v4, vcc_lo, v5, v10, vcc_lo
	v_add_co_ci_u32_e32 v5, vcc_lo, 0, v12, vcc_lo
	s_delay_alu instid0(VALU_DEP_2) | instskip(NEXT) | instid1(VALU_DEP_2)
	v_add_co_u32 v9, vcc_lo, v4, v11
	v_add_co_ci_u32_e32 v6, vcc_lo, 0, v5, vcc_lo
	s_delay_alu instid0(VALU_DEP_2) | instskip(SKIP_1) | instid1(VALU_DEP_3)
	v_mul_lo_u32 v10, s25, v9
	v_mad_u64_u32 v[4:5], null, s24, v9, 0
	v_mul_lo_u32 v11, s24, v6
	s_delay_alu instid0(VALU_DEP_2) | instskip(NEXT) | instid1(VALU_DEP_2)
	v_sub_co_u32 v4, vcc_lo, v7, v4
	v_add3_u32 v5, v5, v11, v10
	s_delay_alu instid0(VALU_DEP_1) | instskip(NEXT) | instid1(VALU_DEP_1)
	v_sub_nc_u32_e32 v10, v8, v5
	v_subrev_co_ci_u32_e64 v10, s2, s25, v10, vcc_lo
	v_add_co_u32 v11, s2, v9, 2
	s_delay_alu instid0(VALU_DEP_1) | instskip(SKIP_3) | instid1(VALU_DEP_3)
	v_add_co_ci_u32_e64 v12, s2, 0, v6, s2
	v_sub_co_u32 v13, s2, v4, s24
	v_sub_co_ci_u32_e32 v5, vcc_lo, v8, v5, vcc_lo
	v_subrev_co_ci_u32_e64 v10, s2, 0, v10, s2
	v_cmp_le_u32_e32 vcc_lo, s24, v13
	s_delay_alu instid0(VALU_DEP_3) | instskip(SKIP_1) | instid1(VALU_DEP_4)
	v_cmp_eq_u32_e64 s2, s25, v5
	v_cndmask_b32_e64 v13, 0, -1, vcc_lo
	v_cmp_le_u32_e32 vcc_lo, s25, v10
	v_cndmask_b32_e64 v14, 0, -1, vcc_lo
	v_cmp_le_u32_e32 vcc_lo, s24, v4
	;; [unrolled: 2-line block ×3, first 2 shown]
	v_cndmask_b32_e64 v15, 0, -1, vcc_lo
	v_cmp_eq_u32_e32 vcc_lo, s25, v10
	s_delay_alu instid0(VALU_DEP_2) | instskip(SKIP_3) | instid1(VALU_DEP_3)
	v_cndmask_b32_e64 v4, v15, v4, s2
	v_cndmask_b32_e32 v10, v14, v13, vcc_lo
	v_add_co_u32 v13, vcc_lo, v9, 1
	v_add_co_ci_u32_e32 v14, vcc_lo, 0, v6, vcc_lo
	v_cmp_ne_u32_e32 vcc_lo, 0, v10
	s_delay_alu instid0(VALU_DEP_2) | instskip(SKIP_1) | instid1(VALU_DEP_2)
	v_dual_cndmask_b32 v5, v14, v12 :: v_dual_cndmask_b32 v10, v13, v11
	v_cmp_ne_u32_e32 vcc_lo, 0, v4
	v_dual_cndmask_b32 v6, v6, v5 :: v_dual_cndmask_b32 v5, v9, v10
.LBB0_4:                                ;   in Loop: Header=BB0_2 Depth=1
	s_and_not1_saveexec_b32 s2, s3
	s_cbranch_execz .LBB0_6
; %bb.5:                                ;   in Loop: Header=BB0_2 Depth=1
	v_cvt_f32_u32_e32 v4, s24
	s_sub_i32 s3, 0, s24
	s_delay_alu instid0(VALU_DEP_1) | instskip(SKIP_2) | instid1(VALU_DEP_1)
	v_rcp_iflag_f32_e32 v4, v4
	s_waitcnt_depctr 0xfff
	v_mul_f32_e32 v4, 0x4f7ffffe, v4
	v_cvt_u32_f32_e32 v4, v4
	s_delay_alu instid0(VALU_DEP_1) | instskip(NEXT) | instid1(VALU_DEP_1)
	v_mul_lo_u32 v5, s3, v4
	v_mul_hi_u32 v5, v4, v5
	s_delay_alu instid0(VALU_DEP_1) | instskip(NEXT) | instid1(VALU_DEP_1)
	v_add_nc_u32_e32 v4, v4, v5
	v_mul_hi_u32 v4, v7, v4
	s_delay_alu instid0(VALU_DEP_1) | instskip(SKIP_1) | instid1(VALU_DEP_2)
	v_mul_lo_u32 v5, v4, s24
	v_add_nc_u32_e32 v6, 1, v4
	v_sub_nc_u32_e32 v5, v7, v5
	s_delay_alu instid0(VALU_DEP_1) | instskip(SKIP_1) | instid1(VALU_DEP_2)
	v_subrev_nc_u32_e32 v9, s24, v5
	v_cmp_le_u32_e32 vcc_lo, s24, v5
	v_dual_cndmask_b32 v5, v5, v9 :: v_dual_cndmask_b32 v4, v4, v6
	s_delay_alu instid0(VALU_DEP_1) | instskip(NEXT) | instid1(VALU_DEP_2)
	v_cmp_le_u32_e32 vcc_lo, s24, v5
	v_add_nc_u32_e32 v6, 1, v4
	s_delay_alu instid0(VALU_DEP_1)
	v_dual_cndmask_b32 v5, v4, v6 :: v_dual_mov_b32 v6, v3
.LBB0_6:                                ;   in Loop: Header=BB0_2 Depth=1
	s_or_b32 exec_lo, exec_lo, s2
	s_delay_alu instid0(VALU_DEP_1) | instskip(NEXT) | instid1(VALU_DEP_2)
	v_mul_lo_u32 v4, v6, s24
	v_mul_lo_u32 v11, v5, s25
	s_load_b64 s[2:3], s[14:15], 0x0
	v_mad_u64_u32 v[9:10], null, v5, s24, 0
	s_load_b64 s[24:25], s[12:13], 0x0
	s_add_u32 s22, s22, 1
	s_addc_u32 s23, s23, 0
	s_add_u32 s12, s12, 8
	s_addc_u32 s13, s13, 0
	s_add_u32 s14, s14, 8
	s_delay_alu instid0(VALU_DEP_1) | instskip(SKIP_3) | instid1(VALU_DEP_2)
	v_add3_u32 v4, v10, v11, v4
	v_sub_co_u32 v11, vcc_lo, v7, v9
	s_addc_u32 s15, s15, 0
	s_add_u32 s20, s20, 8
	v_sub_co_ci_u32_e32 v4, vcc_lo, v8, v4, vcc_lo
	s_addc_u32 s21, s21, 0
	s_waitcnt lgkmcnt(0)
	s_delay_alu instid0(VALU_DEP_1)
	v_mul_lo_u32 v12, s2, v4
	v_mul_lo_u32 v13, s3, v11
	v_mad_u64_u32 v[7:8], null, s2, v11, v[31:32]
	v_mul_lo_u32 v4, s24, v4
	v_mul_lo_u32 v14, s25, v11
	v_mad_u64_u32 v[9:10], null, s24, v11, v[1:2]
	v_cmp_ge_u64_e64 s2, s[22:23], s[10:11]
	v_add3_u32 v32, v13, v8, v12
	v_mov_b32_e32 v31, v7
	s_delay_alu instid0(VALU_DEP_4)
	v_add3_u32 v2, v14, v10, v4
	v_mov_b32_e32 v1, v9
	s_and_b32 vcc_lo, exec_lo, s2
	s_cbranch_vccnz .LBB0_9
; %bb.7:                                ;   in Loop: Header=BB0_2 Depth=1
	v_dual_mov_b32 v8, v6 :: v_dual_mov_b32 v7, v5
	s_branch .LBB0_2
.LBB0_8:
	v_dual_mov_b32 v1, v31 :: v_dual_mov_b32 v2, v32
	v_dual_mov_b32 v5, v7 :: v_dual_mov_b32 v6, v8
.LBB0_9:
	s_load_b64 s[0:1], s[0:1], 0x28
	v_mul_hi_u32 v4, 0x2222223, v0
	s_lshl_b64 s[10:11], s[10:11], 3
                                        ; implicit-def: $vgpr3
	s_delay_alu instid0(SALU_CYCLE_1) | instskip(SKIP_4) | instid1(VALU_DEP_1)
	s_add_u32 s2, s18, s10
	s_addc_u32 s3, s19, s11
	s_waitcnt lgkmcnt(0)
	v_cmp_gt_u64_e32 vcc_lo, s[0:1], v[5:6]
	v_cmp_le_u64_e64 s0, s[0:1], v[5:6]
	s_and_saveexec_b32 s1, s0
	s_delay_alu instid0(SALU_CYCLE_1)
	s_xor_b32 s0, exec_lo, s1
; %bb.10:
	v_mul_u32_u24_e32 v3, 0x78, v4
                                        ; implicit-def: $vgpr4
                                        ; implicit-def: $vgpr31_vgpr32
	s_delay_alu instid0(VALU_DEP_1)
	v_sub_nc_u32_e32 v3, v0, v3
                                        ; implicit-def: $vgpr0
; %bb.11:
	s_or_saveexec_b32 s1, s0
	s_load_b64 s[2:3], s[2:3], 0x0
                                        ; implicit-def: $vgpr12
                                        ; implicit-def: $vgpr28
                                        ; implicit-def: $vgpr43
                                        ; implicit-def: $vgpr37
                                        ; implicit-def: $vgpr47
                                        ; implicit-def: $vgpr39
                                        ; implicit-def: $vgpr45
                                        ; implicit-def: $vgpr33
                                        ; implicit-def: $vgpr41
                                        ; implicit-def: $vgpr35
                                        ; implicit-def: $vgpr8
                                        ; implicit-def: $vgpr10
                                        ; implicit-def: $vgpr22
                                        ; implicit-def: $vgpr20
                                        ; implicit-def: $vgpr24
                                        ; implicit-def: $vgpr16
                                        ; implicit-def: $vgpr30
                                        ; implicit-def: $vgpr14
                                        ; implicit-def: $vgpr26
                                        ; implicit-def: $vgpr18
	s_xor_b32 exec_lo, exec_lo, s1
	s_cbranch_execz .LBB0_15
; %bb.12:
	s_add_u32 s10, s16, s10
	s_addc_u32 s11, s17, s11
	v_mul_u32_u24_e32 v3, 0x78, v4
	s_load_b64 s[10:11], s[10:11], 0x0
                                        ; implicit-def: $vgpr17
                                        ; implicit-def: $vgpr25
                                        ; implicit-def: $vgpr29
                                        ; implicit-def: $vgpr15
                                        ; implicit-def: $vgpr23
                                        ; implicit-def: $vgpr19
                                        ; implicit-def: $vgpr21
	s_delay_alu instid0(VALU_DEP_1) | instskip(NEXT) | instid1(VALU_DEP_1)
	v_sub_nc_u32_e32 v3, v0, v3
	v_lshlrev_b32_e32 v0, 3, v3
	s_delay_alu instid0(VALU_DEP_1)
	v_or_b32_e32 v4, 0x1800, v0
	v_or_b32_e32 v11, 0x2400, v0
	;; [unrolled: 1-line block ×3, first 2 shown]
	s_waitcnt lgkmcnt(0)
	v_mul_lo_u32 v9, s11, v5
	v_mul_lo_u32 v10, s10, v6
	v_mad_u64_u32 v[7:8], null, s10, v5, 0
	s_delay_alu instid0(VALU_DEP_1) | instskip(SKIP_1) | instid1(VALU_DEP_2)
	v_add3_u32 v8, v8, v10, v9
	v_lshlrev_b64 v[9:10], 3, v[31:32]
	v_lshlrev_b64 v[7:8], 3, v[7:8]
	s_delay_alu instid0(VALU_DEP_1) | instskip(NEXT) | instid1(VALU_DEP_1)
	v_add_co_u32 v7, s0, s4, v7
	v_add_co_ci_u32_e64 v8, s0, s5, v8, s0
	s_mov_b32 s4, exec_lo
	s_delay_alu instid0(VALU_DEP_2) | instskip(NEXT) | instid1(VALU_DEP_1)
	v_add_co_u32 v12, s0, v7, v9
	v_add_co_ci_u32_e64 v14, s0, v8, v10, s0
	s_delay_alu instid0(VALU_DEP_2) | instskip(NEXT) | instid1(VALU_DEP_1)
	v_add_co_u32 v50, s0, v12, v0
	v_add_co_ci_u32_e64 v51, s0, 0, v14, s0
	v_add_co_u32 v7, s0, v12, v4
	s_delay_alu instid0(VALU_DEP_1) | instskip(SKIP_1) | instid1(VALU_DEP_1)
	v_add_co_ci_u32_e64 v8, s0, 0, v14, s0
	v_add_co_u32 v9, s0, v12, v11
	v_add_co_ci_u32_e64 v10, s0, 0, v14, s0
	v_add_co_u32 v13, s0, v12, v13
	s_delay_alu instid0(VALU_DEP_1) | instskip(SKIP_1) | instid1(VALU_DEP_1)
	v_add_co_ci_u32_e64 v14, s0, 0, v14, s0
	;; [unrolled: 5-line block ×3, first 2 shown]
	v_add_co_u32 v48, s0, 0x3000, v50
	v_add_co_ci_u32_e64 v49, s0, 0, v51, s0
	s_clause 0x9
	global_load_b64 v[11:12], v[50:51], off
	global_load_b64 v[27:28], v[50:51], off offset:1536
	global_load_b64 v[42:43], v[50:51], off offset:3072
	;; [unrolled: 1-line block ×3, first 2 shown]
	global_load_b64 v[44:45], v[9:10], off
	global_load_b64 v[32:33], v[30:31], off offset:2560
	global_load_b64 v[46:47], v[7:8], off
	global_load_b64 v[38:39], v[52:53], off offset:3584
	;; [unrolled: 2-line block ×3, first 2 shown]
                                        ; implicit-def: $vgpr13
                                        ; implicit-def: $vgpr9
                                        ; implicit-def: $vgpr7
	v_cmpx_gt_u32_e32 0x48, v3
; %bb.13:
	s_clause 0x9
	global_load_b64 v[7:8], v[50:51], off offset:960
	global_load_b64 v[9:10], v[50:51], off offset:2496
	;; [unrolled: 1-line block ×10, first 2 shown]
; %bb.14:
	s_or_b32 exec_lo, exec_lo, s4
.LBB0_15:
	s_delay_alu instid0(SALU_CYCLE_1) | instskip(SKIP_3) | instid1(VALU_DEP_2)
	s_or_b32 exec_lo, exec_lo, s1
	s_waitcnt vmcnt(1)
	v_dual_add_f32 v0, v11, v42 :: v_dual_sub_f32 v51, v40, v44
	v_dual_add_f32 v4, v46, v44 :: v_dual_and_b32 v31, 1, v54
	v_dual_sub_f32 v49, v47, v45 :: v_dual_add_f32 v0, v0, v46
	v_sub_f32_e32 v48, v43, v41
	s_delay_alu instid0(VALU_DEP_3) | instskip(SKIP_1) | instid1(VALU_DEP_4)
	v_fma_f32 v50, -0.5, v4, v11
	v_add_f32_e32 v52, v42, v40
	v_dual_sub_f32 v4, v42, v46 :: v_dual_add_f32 v53, v0, v44
	v_cmp_eq_u32_e64 s0, 1, v31
	s_delay_alu instid0(VALU_DEP_3) | instskip(NEXT) | instid1(VALU_DEP_3)
	v_dual_fmamk_f32 v54, v48, 0xbf737871, v50 :: v_dual_fmac_f32 v11, -0.5, v52
	v_dual_add_f32 v4, v4, v51 :: v_dual_add_f32 v55, v38, v32
	s_delay_alu instid0(VALU_DEP_2) | instskip(SKIP_1) | instid1(VALU_DEP_4)
	v_dual_add_f32 v31, v53, v40 :: v_dual_fmac_f32 v54, 0xbf167918, v49
	v_sub_f32_e32 v53, v44, v40
	v_dual_fmac_f32 v50, 0x3f737871, v48 :: v_dual_fmamk_f32 v51, v49, 0x3f737871, v11
	v_sub_f32_e32 v52, v46, v42
	v_fma_f32 v63, -0.5, v55, v27
	s_waitcnt vmcnt(0)
	s_delay_alu instid0(VALU_DEP_3)
	v_dual_sub_f32 v55, v37, v35 :: v_dual_fmac_f32 v50, 0x3f167918, v49
	v_fmac_f32_e32 v51, 0xbf167918, v48
	v_dual_fmac_f32 v11, 0xbf737871, v49 :: v_dual_sub_f32 v56, v34, v32
	v_dual_add_f32 v52, v52, v53 :: v_dual_add_f32 v53, v27, v36
	v_dual_fmac_f32 v54, 0x3e9e377a, v4 :: v_dual_sub_f32 v49, v39, v33
	v_fmac_f32_e32 v50, 0x3e9e377a, v4
	s_delay_alu instid0(VALU_DEP_4) | instskip(NEXT) | instid1(VALU_DEP_4)
	v_fmac_f32_e32 v11, 0x3f167918, v48
	v_dual_fmac_f32 v51, 0x3e9e377a, v52 :: v_dual_add_f32 v4, v53, v38
	v_dual_sub_f32 v53, v36, v38 :: v_dual_fmamk_f32 v64, v55, 0xbf737871, v63
	s_delay_alu instid0(VALU_DEP_3) | instskip(NEXT) | instid1(VALU_DEP_3)
	v_dual_add_f32 v48, v36, v34 :: v_dual_fmac_f32 v11, 0x3e9e377a, v52
	v_dual_add_f32 v4, v4, v32 :: v_dual_fmac_f32 v63, 0x3f737871, v55
	s_delay_alu instid0(VALU_DEP_3) | instskip(NEXT) | instid1(VALU_DEP_2)
	v_dual_add_f32 v53, v53, v56 :: v_dual_fmac_f32 v64, 0xbf167918, v49
	v_dual_fmac_f32 v27, -0.5, v48 :: v_dual_add_f32 v4, v4, v34
	s_delay_alu instid0(VALU_DEP_3) | instskip(SKIP_2) | instid1(VALU_DEP_3)
	v_dual_fmac_f32 v63, 0x3f167918, v49 :: v_dual_sub_f32 v56, v32, v34
	v_sub_f32_e32 v34, v36, v34
	v_add_f32_e32 v48, v39, v33
	v_dual_sub_f32 v52, v38, v36 :: v_dual_fmac_f32 v63, 0x3e9e377a, v53
	v_sub_f32_e32 v32, v38, v32
	v_add_f32_e32 v36, v37, v35
	s_delay_alu instid0(VALU_DEP_4) | instskip(SKIP_2) | instid1(VALU_DEP_4)
	v_fma_f32 v65, -0.5, v48, v28
	v_dual_fmac_f32 v64, 0x3e9e377a, v53 :: v_dual_sub_f32 v53, v33, v35
	v_cndmask_b32_e64 v0, 0, 0x780, s0
	v_fma_f32 v68, -0.5, v36, v28
	s_delay_alu instid0(VALU_DEP_4) | instskip(SKIP_2) | instid1(VALU_DEP_4)
	v_fmamk_f32 v69, v34, 0x3f737871, v65
	v_dual_fmac_f32 v65, 0xbf737871, v34 :: v_dual_sub_f32 v36, v37, v39
	v_cmp_gt_u32_e64 s1, 0x48, v3
	v_fmamk_f32 v67, v32, 0xbf737871, v68
	s_delay_alu instid0(VALU_DEP_4) | instskip(NEXT) | instid1(VALU_DEP_4)
	v_fmac_f32_e32 v69, 0x3f167918, v32
	v_fmac_f32_e32 v65, 0xbf167918, v32
	v_add_f32_e32 v48, v52, v56
	v_sub_f32_e32 v38, v35, v33
	v_fmac_f32_e32 v68, 0x3f737871, v32
	s_delay_alu instid0(VALU_DEP_2) | instskip(NEXT) | instid1(VALU_DEP_1)
	v_dual_sub_f32 v61, v31, v4 :: v_dual_add_f32 v36, v36, v38
	v_fmac_f32_e32 v69, 0x3e9e377a, v36
	s_delay_alu instid0(VALU_DEP_1) | instskip(NEXT) | instid1(VALU_DEP_1)
	v_mul_f32_e32 v32, 0xbf167918, v69
	v_fmac_f32_e32 v32, 0x3f4f1bbd, v64
	v_fmamk_f32 v66, v49, 0x3f737871, v27
	v_fmac_f32_e32 v27, 0xbf737871, v49
	v_sub_f32_e32 v52, v39, v37
	v_dual_add_f32 v49, v21, v29 :: v_dual_add_f32 v56, v31, v4
	v_add_f32_e32 v31, v7, v21
	s_delay_alu instid0(VALU_DEP_4) | instskip(SKIP_3) | instid1(VALU_DEP_4)
	v_fmac_f32_e32 v27, 0x3f167918, v55
	v_dual_fmac_f32 v68, 0xbf167918, v34 :: v_dual_sub_f32 v73, v54, v32
	v_fmac_f32_e32 v67, 0x3f167918, v34
	v_add_f32_e32 v57, v54, v32
	v_dual_fmac_f32 v27, 0x3e9e377a, v48 :: v_dual_add_f32 v38, v52, v53
	v_dual_fmac_f32 v65, 0x3e9e377a, v36 :: v_dual_sub_f32 v32, v21, v23
	s_delay_alu instid0(VALU_DEP_2) | instskip(SKIP_1) | instid1(VALU_DEP_3)
	v_fmac_f32_e32 v68, 0x3e9e377a, v38
	v_fmac_f32_e32 v67, 0x3e9e377a, v38
	v_mul_f32_e32 v38, 0xbf167918, v65
	s_delay_alu instid0(VALU_DEP_3) | instskip(NEXT) | instid1(VALU_DEP_3)
	v_mul_f32_e32 v36, 0xbf737871, v68
	v_mul_f32_e32 v34, 0xbf737871, v67
	s_delay_alu instid0(VALU_DEP_2) | instskip(NEXT) | instid1(VALU_DEP_1)
	v_fmac_f32_e32 v36, 0xbe9e377a, v27
	v_dual_fmac_f32 v66, 0xbf167918, v55 :: v_dual_add_f32 v59, v11, v36
	s_delay_alu instid0(VALU_DEP_1)
	v_fmac_f32_e32 v66, 0x3e9e377a, v48
	v_add_f32_e32 v48, v23, v25
	v_sub_f32_e32 v75, v11, v36
	v_add_f32_e32 v11, v31, v23
	v_sub_f32_e32 v31, v24, v26
	v_fmac_f32_e32 v34, 0x3e9e377a, v66
	v_fma_f32 v4, -0.5, v48, v7
	v_fmac_f32_e32 v7, -0.5, v49
	v_dual_add_f32 v11, v11, v25 :: v_dual_sub_f32 v48, v22, v30
	s_delay_alu instid0(VALU_DEP_4) | instskip(SKIP_1) | instid1(VALU_DEP_4)
	v_add_f32_e32 v58, v51, v34
	v_sub_f32_e32 v49, v18, v14
	v_fmamk_f32 v53, v31, 0x3f737871, v7
	v_dual_fmac_f32 v7, 0xbf737871, v31 :: v_dual_sub_f32 v74, v51, v34
	v_fmamk_f32 v34, v48, 0xbf737871, v4
	v_dual_fmac_f32 v4, 0x3f737871, v48 :: v_dual_sub_f32 v51, v15, v13
	s_delay_alu instid0(VALU_DEP_3) | instskip(NEXT) | instid1(VALU_DEP_3)
	v_dual_fmac_f32 v7, 0x3f167918, v48 :: v_dual_sub_f32 v36, v29, v25
	v_fmac_f32_e32 v34, 0xbf167918, v31
	s_delay_alu instid0(VALU_DEP_3) | instskip(SKIP_3) | instid1(VALU_DEP_3)
	v_fmac_f32_e32 v4, 0x3f167918, v31
	v_add_f32_e32 v31, v9, v19
	v_fmac_f32_e32 v38, 0xbf4f1bbd, v63
	v_fmac_f32_e32 v53, 0xbf167918, v48
	v_dual_sub_f32 v48, v20, v16 :: v_dual_add_f32 v31, v31, v17
	s_delay_alu instid0(VALU_DEP_3)
	v_add_f32_e32 v60, v50, v38
	v_sub_f32_e32 v76, v50, v38
	v_sub_f32_e32 v50, v19, v17
	v_add_f32_e32 v32, v32, v36
	v_dual_add_f32 v36, v29, v11 :: v_dual_sub_f32 v11, v23, v21
	v_add_f32_e32 v38, v13, v17
	s_delay_alu instid0(VALU_DEP_3) | instskip(SKIP_2) | instid1(VALU_DEP_1)
	v_dual_add_f32 v31, v13, v31 :: v_dual_fmac_f32 v34, 0x3e9e377a, v32
	v_fmac_f32_e32 v4, 0x3e9e377a, v32
	v_sub_f32_e32 v32, v25, v29
	v_add_f32_e32 v32, v11, v32
	v_fma_f32 v11, -0.5, v38, v9
	v_add_f32_e32 v38, v15, v31
	v_add_f32_e32 v31, v51, v50
	v_add_f32_e32 v51, v14, v18
	v_fmac_f32_e32 v53, 0x3e9e377a, v32
	v_dual_fmac_f32 v7, 0x3e9e377a, v32 :: v_dual_add_f32 v32, v19, v15
	s_delay_alu instid0(VALU_DEP_3) | instskip(SKIP_1) | instid1(VALU_DEP_3)
	v_fma_f32 v72, -0.5, v51, v10
	v_sub_f32_e32 v51, v18, v20
	v_dual_fmac_f32 v9, -0.5, v32 :: v_dual_sub_f32 v32, v17, v19
	v_sub_f32_e32 v19, v19, v15
	s_delay_alu instid0(VALU_DEP_2) | instskip(SKIP_3) | instid1(VALU_DEP_4)
	v_fmamk_f32 v71, v49, 0x3f737871, v9
	v_fmac_f32_e32 v9, 0xbf737871, v49
	v_fmamk_f32 v70, v48, 0xbf737871, v11
	v_dual_fmac_f32 v11, 0x3f737871, v48 :: v_dual_sub_f32 v50, v13, v15
	v_fmac_f32_e32 v71, 0xbf167918, v48
	s_delay_alu instid0(VALU_DEP_4) | instskip(NEXT) | instid1(VALU_DEP_4)
	v_fmac_f32_e32 v9, 0x3f167918, v48
	v_fmac_f32_e32 v70, 0xbf167918, v49
	s_delay_alu instid0(VALU_DEP_4) | instskip(NEXT) | instid1(VALU_DEP_2)
	v_fmac_f32_e32 v11, 0x3f167918, v49
	v_dual_sub_f32 v49, v16, v14 :: v_dual_fmac_f32 v70, 0x3e9e377a, v31
	s_delay_alu instid0(VALU_DEP_2) | instskip(SKIP_1) | instid1(VALU_DEP_1)
	v_fmac_f32_e32 v11, 0x3e9e377a, v31
	v_add_f32_e32 v31, v20, v16
	v_fma_f32 v15, -0.5, v31, v10
	v_add_f32_e32 v32, v50, v32
	v_dual_sub_f32 v50, v17, v13 :: v_dual_fmamk_f32 v13, v19, 0x3f737871, v72
	v_dual_sub_f32 v31, v20, v18 :: v_dual_fmac_f32 v72, 0xbf737871, v19
	s_delay_alu instid0(VALU_DEP_2) | instskip(NEXT) | instid1(VALU_DEP_2)
	v_fmamk_f32 v17, v50, 0xbf737871, v15
	v_add_f32_e32 v31, v49, v31
	s_delay_alu instid0(VALU_DEP_2) | instskip(SKIP_3) | instid1(VALU_DEP_3)
	v_fmac_f32_e32 v17, 0x3f167918, v19
	v_dual_fmac_f32 v15, 0x3f737871, v50 :: v_dual_sub_f32 v52, v14, v16
	v_fmac_f32_e32 v72, 0xbf167918, v50
	v_fmac_f32_e32 v71, 0x3e9e377a, v32
	;; [unrolled: 1-line block ×3, first 2 shown]
	s_delay_alu instid0(VALU_DEP_4) | instskip(NEXT) | instid1(VALU_DEP_4)
	v_add_f32_e32 v49, v52, v51
	v_fmac_f32_e32 v72, 0x3e9e377a, v31
	v_mul_u32_u24_e32 v19, 10, v3
	v_sub_f32_e32 v51, v36, v38
	s_delay_alu instid0(VALU_DEP_4) | instskip(SKIP_1) | instid1(VALU_DEP_4)
	v_fmac_f32_e32 v17, 0x3e9e377a, v49
	v_fmac_f32_e32 v15, 0x3e9e377a, v49
	v_lshl_add_u32 v48, v19, 2, 0
	s_delay_alu instid0(VALU_DEP_2) | instskip(SKIP_1) | instid1(VALU_DEP_3)
	v_dual_mul_f32 v62, 0xbf737871, v17 :: v_dual_mul_f32 v49, 0xbf737871, v15
	v_fmac_f32_e32 v9, 0x3e9e377a, v32
	v_lshl_add_u32 v19, v0, 2, v48
	ds_store_2addr_b64 v19, v[56:57], v[58:59] offset1:1
	ds_store_2addr_b64 v19, v[60:61], v[73:74] offset0:2 offset1:3
	ds_store_b64 v19, v[75:76] offset:32
	v_fmac_f32_e32 v62, 0x3e9e377a, v71
	v_fmac_f32_e32 v49, 0xbe9e377a, v9
	s_delay_alu instid0(VALU_DEP_1) | instskip(NEXT) | instid1(VALU_DEP_1)
	v_dual_fmac_f32 v13, 0x3f167918, v50 :: v_dual_add_f32 v32, v7, v49
	v_fmac_f32_e32 v13, 0x3e9e377a, v31
	v_mul_f32_e32 v55, 0xbf167918, v72
	v_add_f32_e32 v31, v53, v62
	s_delay_alu instid0(VALU_DEP_3) | instskip(NEXT) | instid1(VALU_DEP_3)
	v_dual_sub_f32 v53, v53, v62 :: v_dual_mul_f32 v54, 0xbf167918, v13
	v_fmac_f32_e32 v55, 0xbf4f1bbd, v11
	s_delay_alu instid0(VALU_DEP_2) | instskip(NEXT) | instid1(VALU_DEP_2)
	v_fmac_f32_e32 v54, 0x3f4f1bbd, v70
	v_add_f32_e32 v50, v4, v55
	s_delay_alu instid0(VALU_DEP_2)
	v_sub_f32_e32 v52, v34, v54
	s_and_saveexec_b32 s0, s1
	s_cbranch_execz .LBB0_17
; %bb.16:
	v_sub_f32_e32 v55, v4, v55
	v_dual_add_f32 v57, v34, v54 :: v_dual_add_nc_u32 v4, 0x12d0, v19
	v_add_f32_e32 v56, v36, v38
	v_add_nc_u32_e32 v34, 0x12c0, v19
	v_sub_f32_e32 v54, v7, v49
	ds_store_2addr_b64 v4, v[50:51], v[52:53] offset1:1
	ds_store_2addr_b64 v34, v[56:57], v[31:32] offset1:1
	ds_store_b64 v19, v[54:55] offset:4832
.LBB0_17:
	s_or_b32 exec_lo, exec_lo, s0
	v_lshlrev_b32_e32 v4, 2, v0
	v_mul_i32_i24_e32 v0, 0xffffffdc, v3
	v_lshlrev_b32_e32 v36, 2, v3
	s_waitcnt lgkmcnt(0)
	s_barrier
	buffer_gl0_inv
	v_add3_u32 v0, v48, v0, v4
	v_add3_u32 v34, 0, v4, v36
	v_cmp_gt_u32_e64 s0, 0x50, v3
	s_delay_alu instid0(VALU_DEP_3)
	v_add_nc_u32_e32 v7, 0x180, v0
	v_add_nc_u32_e32 v38, 0x680, v0
	;; [unrolled: 1-line block ×5, first 2 shown]
	ds_load_2addr_b32 v[48:49], v7 offset0:24 offset1:224
	ds_load_2addr_b32 v[60:61], v38 offset0:24 offset1:224
	;; [unrolled: 1-line block ×5, first 2 shown]
	ds_load_b32 v38, v34
	ds_load_b32 v62, v0 offset:6880
	s_and_saveexec_b32 s4, s0
	s_cbranch_execz .LBB0_19
; %bb.18:
	v_add_nc_u32_e32 v7, 0xc0, v0
	ds_load_2addr_stride64_b32 v[31:32], v7 offset0:3 offset1:8
	ds_load_2addr_stride64_b32 v[50:51], v7 offset0:13 offset1:18
	;; [unrolled: 1-line block ×3, first 2 shown]
.LBB0_19:
	s_or_b32 exec_lo, exec_lo, s4
	v_dual_add_f32 v7, v47, v45 :: v_dual_sub_f32 v40, v42, v40
	v_dual_add_f32 v73, v12, v43 :: v_dual_sub_f32 v42, v46, v44
	v_sub_f32_e32 v44, v43, v47
	s_delay_alu instid0(VALU_DEP_3)
	v_fma_f32 v46, -0.5, v7, v12
	v_sub_f32_e32 v7, v41, v45
	v_add_f32_e32 v74, v43, v41
	v_sub_f32_e32 v43, v47, v43
	v_add_f32_e32 v47, v73, v47
	v_fmamk_f32 v73, v40, 0x3f737871, v46
	v_dual_sub_f32 v75, v45, v41 :: v_dual_fmac_f32 v46, 0xbf737871, v40
	v_dual_fmac_f32 v12, -0.5, v74 :: v_dual_add_f32 v7, v44, v7
	s_delay_alu instid0(VALU_DEP_3) | instskip(NEXT) | instid1(VALU_DEP_2)
	v_dual_add_f32 v44, v47, v45 :: v_dual_fmac_f32 v73, 0x3f167918, v42
	v_dual_add_f32 v28, v28, v37 :: v_dual_fmamk_f32 v37, v42, 0xbf737871, v12
	v_fmac_f32_e32 v12, 0x3f737871, v42
	s_delay_alu instid0(VALU_DEP_3) | instskip(SKIP_1) | instid1(VALU_DEP_4)
	v_add_f32_e32 v44, v44, v41
	v_fmac_f32_e32 v46, 0xbf167918, v42
	v_dual_add_f32 v28, v28, v39 :: v_dual_fmac_f32 v37, 0x3f167918, v40
	v_fmac_f32_e32 v73, 0x3e9e377a, v7
	v_add_f32_e32 v39, v43, v75
	s_delay_alu instid0(VALU_DEP_4) | instskip(NEXT) | instid1(VALU_DEP_4)
	v_dual_fmac_f32 v46, 0x3e9e377a, v7 :: v_dual_mul_f32 v7, 0x3e9e377a, v68
	v_add_f32_e32 v28, v28, v33
	v_fmac_f32_e32 v12, 0xbf167918, v40
	v_dual_mul_f32 v33, 0x3f4f1bbd, v69 :: v_dual_add_f32 v42, v24, v26
	s_delay_alu instid0(VALU_DEP_4) | instskip(NEXT) | instid1(VALU_DEP_4)
	v_fma_f32 v47, 0x3f737871, v27, -v7
	v_add_f32_e32 v35, v28, v35
	s_delay_alu instid0(VALU_DEP_4) | instskip(SKIP_4) | instid1(VALU_DEP_4)
	v_dual_fmac_f32 v12, 0x3e9e377a, v39 :: v_dual_add_f32 v7, v8, v22
	v_mul_f32_e32 v45, 0x3f737871, v66
	v_mul_f32_e32 v28, 0x3f4f1bbd, v65
	v_fmac_f32_e32 v33, 0x3f167918, v64
	v_sub_f32_e32 v25, v23, v25
	v_dual_add_f32 v64, v7, v24 :: v_dual_fmac_f32 v45, 0x3e9e377a, v67
	s_delay_alu instid0(VALU_DEP_4)
	v_fma_f32 v63, 0x3f167918, v63, -v28
	v_add_f32_e32 v28, v12, v47
	v_dual_fmac_f32 v37, 0x3e9e377a, v39 :: v_dual_add_f32 v40, v73, v33
	v_fma_f32 v7, -0.5, v42, v8
	v_sub_f32_e32 v29, v21, v29
	v_add_f32_e32 v39, v44, v35
	s_delay_alu instid0(VALU_DEP_4)
	v_dual_add_f32 v27, v37, v45 :: v_dual_sub_f32 v42, v44, v35
	v_dual_add_f32 v41, v46, v63 :: v_dual_sub_f32 v44, v37, v45
	v_sub_f32_e32 v45, v12, v47
	v_dual_sub_f32 v46, v46, v63 :: v_dual_fmamk_f32 v21, v29, 0x3f737871, v7
	v_sub_f32_e32 v12, v22, v24
	v_add_f32_e32 v35, v22, v30
	v_dual_sub_f32 v43, v73, v33 :: v_dual_sub_f32 v22, v24, v22
	s_delay_alu instid0(VALU_DEP_4) | instskip(SKIP_1) | instid1(VALU_DEP_4)
	v_dual_sub_f32 v24, v26, v30 :: v_dual_fmac_f32 v21, 0x3f167918, v25
	v_add_f32_e32 v10, v10, v20
	v_dual_fmac_f32 v8, -0.5, v35 :: v_dual_add_f32 v33, v64, v26
	s_delay_alu instid0(VALU_DEP_3) | instskip(NEXT) | instid1(VALU_DEP_2)
	v_dual_fmac_f32 v7, 0xbf737871, v29 :: v_dual_add_f32 v22, v22, v24
	v_dual_add_f32 v10, v10, v18 :: v_dual_fmamk_f32 v35, v25, 0xbf737871, v8
	v_fmac_f32_e32 v8, 0x3f737871, v25
	v_mul_f32_e32 v20, 0x3e9e377a, v17
	v_add_nc_u32_e32 v24, 0x78, v3
	s_delay_alu instid0(VALU_DEP_4) | instskip(NEXT) | instid1(VALU_DEP_4)
	v_dual_add_f32 v10, v14, v10 :: v_dual_fmac_f32 v7, 0xbf167918, v25
	v_fmac_f32_e32 v8, 0xbf167918, v29
	v_add_f32_e32 v23, v30, v33
	v_sub_f32_e32 v33, v30, v26
	s_delay_alu instid0(VALU_DEP_4)
	v_add_f32_e32 v16, v16, v10
	s_waitcnt lgkmcnt(0)
	v_fmac_f32_e32 v8, 0x3e9e377a, v22
	v_fmac_f32_e32 v35, 0x3f167918, v29
	v_add_f32_e32 v12, v12, v33
	s_barrier
	buffer_gl0_inv
	ds_store_2addr_b64 v19, v[39:40], v[27:28] offset1:1
	ds_store_2addr_b64 v19, v[41:42], v[43:44] offset0:2 offset1:3
	ds_store_b64 v19, v[45:46] offset:32
	v_fmac_f32_e32 v21, 0x3e9e377a, v12
	v_dual_fmac_f32 v7, 0x3e9e377a, v12 :: v_dual_mul_f32 v12, 0x3e9e377a, v15
	s_delay_alu instid0(VALU_DEP_1) | instskip(SKIP_1) | instid1(VALU_DEP_2)
	v_fma_f32 v17, 0x3f737871, v9, -v12
	v_dual_sub_f32 v12, v23, v16 :: v_dual_fmac_f32 v35, 0x3e9e377a, v22
	v_add_f32_e32 v10, v8, v17
	v_fmac_f32_e32 v20, 0x3f737871, v71
	s_delay_alu instid0(VALU_DEP_1) | instskip(NEXT) | instid1(VALU_DEP_1)
	v_dual_mul_f32 v15, 0x3f167918, v70 :: v_dual_sub_f32 v14, v35, v20
	v_dual_mul_f32 v18, 0x3f4f1bbd, v72 :: v_dual_fmac_f32 v15, 0x3f4f1bbd, v13
	s_delay_alu instid0(VALU_DEP_1) | instskip(NEXT) | instid1(VALU_DEP_2)
	v_fma_f32 v18, 0x3f167918, v11, -v18
	v_sub_f32_e32 v13, v21, v15
	s_delay_alu instid0(VALU_DEP_2)
	v_add_f32_e32 v11, v7, v18
	v_add_f32_e32 v9, v35, v20
	s_and_saveexec_b32 s4, s1
	s_cbranch_execz .LBB0_21
; %bb.20:
	v_mul_u32_u24_e32 v19, 10, v24
	v_dual_add_f32 v20, v21, v15 :: v_dual_sub_f32 v15, v8, v17
	s_delay_alu instid0(VALU_DEP_2) | instskip(SKIP_1) | instid1(VALU_DEP_2)
	v_dual_add_f32 v19, v23, v16 :: v_dual_lshlrev_b32 v22, 2, v19
	v_sub_f32_e32 v16, v7, v18
	v_add3_u32 v21, 0, v22, v4
	ds_store_2addr_b64 v21, v[19:20], v[9:10] offset1:1
	ds_store_2addr_b64 v21, v[11:12], v[13:14] offset0:2 offset1:3
	ds_store_b64 v21, v[15:16] offset:32
.LBB0_21:
	s_or_b32 exec_lo, exec_lo, s4
	v_add_nc_u32_e32 v7, 0x180, v0
	v_add_nc_u32_e32 v15, 0x680, v0
	;; [unrolled: 1-line block ×5, first 2 shown]
	s_waitcnt lgkmcnt(0)
	s_barrier
	buffer_gl0_inv
	ds_load_2addr_b32 v[7:8], v7 offset0:24 offset1:224
	ds_load_2addr_b32 v[21:22], v15 offset0:24 offset1:224
	;; [unrolled: 1-line block ×5, first 2 shown]
	ds_load_b32 v33, v34
	ds_load_b32 v23, v0 offset:6880
	s_and_saveexec_b32 s1, s0
	s_cbranch_execz .LBB0_23
; %bb.22:
	v_add_nc_u32_e32 v13, 0xc0, v0
	ds_load_2addr_stride64_b32 v[9:10], v13 offset0:3 offset1:8
	ds_load_2addr_stride64_b32 v[11:12], v13 offset0:13 offset1:18
	;; [unrolled: 1-line block ×3, first 2 shown]
.LBB0_23:
	s_or_b32 exec_lo, exec_lo, s1
	v_and_b32_e32 v25, 0xff, v3
	v_and_b32_e32 v26, 0xff, v24
	s_delay_alu instid0(VALU_DEP_2) | instskip(NEXT) | instid1(VALU_DEP_2)
	v_mul_lo_u16 v25, 0xcd, v25
	v_mul_lo_u16 v26, 0xcd, v26
	s_delay_alu instid0(VALU_DEP_2) | instskip(NEXT) | instid1(VALU_DEP_2)
	v_lshrrev_b16 v25, 11, v25
	v_lshrrev_b16 v26, 11, v26
	s_delay_alu instid0(VALU_DEP_2) | instskip(NEXT) | instid1(VALU_DEP_2)
	v_mul_lo_u16 v27, v25, 10
	v_mul_lo_u16 v28, v26, 10
	s_delay_alu instid0(VALU_DEP_2) | instskip(NEXT) | instid1(VALU_DEP_2)
	v_sub_nc_u16 v27, v3, v27
	v_sub_nc_u16 v24, v24, v28
	s_delay_alu instid0(VALU_DEP_2) | instskip(NEXT) | instid1(VALU_DEP_1)
	v_and_b32_e32 v27, 0xff, v27
	v_mul_u32_u24_e32 v28, 5, v27
	s_delay_alu instid0(VALU_DEP_1)
	v_lshlrev_b32_e32 v28, 3, v28
	s_clause 0x1
	global_load_b128 v[42:45], v28, s[8:9]
	global_load_b128 v[63:66], v28, s[8:9] offset:16
	v_add_nc_u32_e32 v29, 0xf0, v3
	global_load_b64 v[46:47], v28, s[8:9] offset:32
	v_and_b32_e32 v25, 0xffff, v25
	v_and_b32_e32 v24, 0xff, v24
	;; [unrolled: 1-line block ×3, first 2 shown]
	s_delay_alu instid0(VALU_DEP_3) | instskip(SKIP_2) | instid1(VALU_DEP_3)
	v_mad_u32_u24 v25, 0xf0, v25, 0
	s_waitcnt vmcnt(1) lgkmcnt(4)
	v_mul_f32_e32 v87, v20, v64
	v_mul_u32_u24_e32 v30, 0xcccd, v30
	s_delay_alu instid0(VALU_DEP_2) | instskip(NEXT) | instid1(VALU_DEP_2)
	v_fmac_f32_e32 v87, v59, v63
	v_lshrrev_b32_e32 v28, 19, v30
	s_delay_alu instid0(VALU_DEP_1) | instskip(SKIP_3) | instid1(VALU_DEP_3)
	v_mul_lo_u16 v30, v28, 10
	v_mul_lo_u16 v39, v28, 60
	s_waitcnt lgkmcnt(3)
	v_dual_mul_f32 v28, v18, v66 :: v_dual_lshlrev_b32 v27, 2, v27
	v_sub_nc_u16 v29, v29, v30
	s_delay_alu instid0(VALU_DEP_2) | instskip(SKIP_2) | instid1(VALU_DEP_4)
	v_add3_u32 v41, v25, v27, v4
	v_mul_f32_e32 v27, v22, v45
	v_mul_u32_u24_e32 v35, 5, v24
	v_and_b32_e32 v29, 0xffff, v29
	s_delay_alu instid0(VALU_DEP_3) | instskip(NEXT) | instid1(VALU_DEP_3)
	v_fmac_f32_e32 v27, v61, v44
	v_lshlrev_b32_e32 v35, 3, v35
	s_clause 0x1
	global_load_b128 v[67:70], v35, s[8:9]
	global_load_b128 v[71:74], v35, s[8:9] offset:16
	v_and_b32_e32 v26, 0xffff, v26
	v_lshlrev_b32_e32 v24, 2, v24
	s_delay_alu instid0(VALU_DEP_2) | instskip(SKIP_2) | instid1(VALU_DEP_2)
	v_mad_u32_u24 v26, 0xf0, v26, 0
	s_waitcnt vmcnt(1)
	v_mul_f32_e32 v25, v19, v70
	v_add3_u32 v40, v26, v24, v4
	v_mul_f32_e32 v24, v8, v43
	v_mul_u32_u24_e32 v30, 5, v29
	v_lshl_add_u32 v37, v29, 2, 0
	v_mul_f32_e32 v29, v49, v43
	v_mul_f32_e32 v43, v21, v68
	;; [unrolled: 1-line block ×3, first 2 shown]
	global_load_b64 v[83:84], v35, s[8:9] offset:32
	v_lshlrev_b32_e32 v30, 3, v30
	s_clause 0x2
	global_load_b128 v[75:78], v30, s[8:9]
	global_load_b128 v[79:82], v30, s[8:9] offset:16
	global_load_b64 v[85:86], v30, s[8:9] offset:32
	v_dual_mul_f32 v30, v61, v45 :: v_dual_mul_f32 v45, v59, v64
	v_mul_f32_e32 v64, v57, v66
	s_waitcnt lgkmcnt(2)
	v_mul_f32_e32 v66, v16, v47
	s_waitcnt vmcnt(4)
	v_dual_mul_f32 v47, v55, v47 :: v_dual_mul_f32 v88, v17, v72
	v_mul_f32_e32 v26, v15, v74
	v_mul_f32_e32 v74, v54, v74
	;; [unrolled: 1-line block ×3, first 2 shown]
	v_dual_mul_f32 v72, v56, v72 :: v_dual_fmac_f32 v25, v58, v69
	v_fma_f32 v29, v8, v42, -v29
	v_fma_f32 v35, v22, v44, -v30
	;; [unrolled: 1-line block ×3, first 2 shown]
	v_fmac_f32_e32 v28, v57, v65
	v_fma_f32 v20, v18, v65, -v64
	v_fmac_f32_e32 v66, v55, v46
	v_fma_f32 v22, v16, v46, -v47
	v_fma_f32 v16, v21, v67, -v68
	v_fmac_f32_e32 v88, v56, v71
	v_fmac_f32_e32 v26, v54, v73
	v_fma_f32 v19, v19, v69, -v70
	v_fma_f32 v17, v17, v71, -v72
	s_waitcnt vmcnt(0) lgkmcnt(0)
	s_barrier
	buffer_gl0_inv
	v_fmac_f32_e32 v43, v60, v67
	v_mul_f32_e32 v89, v23, v84
	v_mul_f32_e32 v84, v62, v84
	v_fmac_f32_e32 v24, v49, v42
	v_fma_f32 v18, v15, v73, -v74
	s_delay_alu instid0(VALU_DEP_4)
	v_dual_mul_f32 v8, v32, v76 :: v_dual_fmac_f32 v89, v62, v83
	v_mul_f32_e32 v21, v14, v86
	v_fma_f32 v15, v23, v83, -v84
	v_dual_mul_f32 v23, v10, v76 :: v_dual_mul_f32 v44, v11, v78
	v_dual_mul_f32 v55, v12, v80 :: v_dual_mul_f32 v42, v50, v78
	v_mul_f32_e32 v47, v51, v80
	v_mul_f32_e32 v45, v13, v82
	;; [unrolled: 1-line block ×3, first 2 shown]
	v_dual_mul_f32 v54, v52, v82 :: v_dual_fmac_f32 v21, v53, v85
	v_fmac_f32_e32 v23, v32, v75
	v_fma_f32 v46, v10, v75, -v8
	v_dual_fmac_f32 v44, v50, v77 :: v_dual_fmac_f32 v55, v51, v79
	v_fma_f32 v49, v11, v77, -v42
	v_add_f32_e32 v11, v27, v28
	v_fma_f32 v47, v12, v79, -v47
	v_fmac_f32_e32 v45, v52, v81
	v_fma_f32 v8, v14, v85, -v56
	v_dual_add_f32 v12, v24, v87 :: v_dual_sub_f32 v51, v87, v66
	v_dual_add_f32 v14, v87, v66 :: v_dual_add_f32 v57, v88, v89
	v_add_f32_e32 v50, v30, v22
	v_dual_add_f32 v52, v48, v25 :: v_dual_add_f32 v53, v25, v26
	v_fma_f32 v42, v13, v81, -v54
	v_dual_add_f32 v10, v38, v27 :: v_dual_sub_f32 v13, v35, v20
	v_dual_sub_f32 v32, v30, v22 :: v_dual_add_f32 v59, v17, v15
	s_delay_alu instid0(VALU_DEP_2)
	v_dual_sub_f32 v54, v19, v18 :: v_dual_add_f32 v61, v10, v28
	v_add_f32_e32 v56, v43, v88
	v_sub_f32_e32 v58, v17, v15
	v_dual_fmac_f32 v38, -0.5, v11 :: v_dual_add_f32 v11, v12, v66
	v_fmac_f32_e32 v43, -0.5, v57
	v_fma_f32 v12, -0.5, v50, v29
	v_fmac_f32_e32 v48, -0.5, v53
	v_dual_sub_f32 v60, v88, v89 :: v_dual_add_f32 v57, v47, v8
	v_fmac_f32_e32 v24, -0.5, v14
	s_delay_alu instid0(VALU_DEP_3)
	v_dual_add_f32 v50, v52, v26 :: v_dual_fmamk_f32 v63, v54, 0xbf5db3d7, v48
	v_fma_f32 v10, -0.5, v59, v16
	v_add_f32_e32 v53, v55, v21
	v_dual_sub_f32 v59, v55, v21 :: v_dual_fmamk_f32 v62, v13, 0xbf5db3d7, v38
	v_fmac_f32_e32 v48, 0x3f5db3d7, v54
	v_fmamk_f32 v54, v58, 0xbf5db3d7, v43
	v_fmac_f32_e32 v38, 0x3f5db3d7, v13
	v_fmamk_f32 v14, v51, 0x3f5db3d7, v12
	v_add_f32_e32 v52, v56, v89
	v_dual_sub_f32 v56, v47, v8 :: v_dual_fmamk_f32 v13, v32, 0xbf5db3d7, v24
	v_fmac_f32_e32 v24, 0x3f5db3d7, v32
	v_add_f32_e32 v32, v61, v11
	v_sub_f32_e32 v61, v61, v11
	v_fmamk_f32 v11, v60, 0x3f5db3d7, v10
	v_fmac_f32_e32 v43, 0x3f5db3d7, v58
	v_fmac_f32_e32 v10, 0xbf5db3d7, v60
	v_add_f32_e32 v58, v50, v52
	v_sub_f32_e32 v60, v50, v52
	v_fma_f32 v52, -0.5, v57, v46
	v_mul_f32_e32 v57, 0xbf5db3d7, v14
	v_fma_f32 v50, -0.5, v53, v23
	v_dual_mul_f32 v65, 0xbf5db3d7, v11 :: v_dual_mul_f32 v66, 0xbf5db3d7, v10
	s_delay_alu instid0(VALU_DEP_4) | instskip(NEXT) | instid1(VALU_DEP_4)
	v_fmamk_f32 v53, v59, 0x3f5db3d7, v52
	v_dual_fmac_f32 v57, 0.5, v13 :: v_dual_fmac_f32 v12, 0xbf5db3d7, v51
	s_delay_alu instid0(VALU_DEP_4) | instskip(NEXT) | instid1(VALU_DEP_4)
	v_fmamk_f32 v51, v56, 0xbf5db3d7, v50
	v_dual_fmac_f32 v50, 0x3f5db3d7, v56 :: v_dual_fmac_f32 v65, 0.5, v54
	s_delay_alu instid0(VALU_DEP_3) | instskip(NEXT) | instid1(VALU_DEP_4)
	v_add_f32_e32 v56, v62, v57
	v_dual_sub_f32 v57, v62, v57 :: v_dual_mul_f32 v64, 0xbf5db3d7, v12
	v_fmac_f32_e32 v66, -0.5, v43
	v_fmac_f32_e32 v52, 0xbf5db3d7, v59
	v_add_f32_e32 v62, v63, v65
	s_delay_alu instid0(VALU_DEP_4) | instskip(NEXT) | instid1(VALU_DEP_1)
	v_dual_sub_f32 v63, v63, v65 :: v_dual_fmac_f32 v64, -0.5, v24
	v_add_f32_e32 v59, v38, v64
	v_sub_f32_e32 v38, v38, v64
	v_add_f32_e32 v64, v48, v66
	v_sub_f32_e32 v48, v48, v66
	ds_store_2addr_b32 v41, v32, v56 offset1:10
	ds_store_2addr_b32 v41, v59, v61 offset0:20 offset1:30
	ds_store_2addr_b32 v41, v57, v38 offset0:40 offset1:50
	ds_store_2addr_b32 v40, v58, v62 offset1:10
	ds_store_2addr_b32 v40, v64, v60 offset0:20 offset1:30
	ds_store_2addr_b32 v40, v63, v48 offset0:40 offset1:50
	s_and_saveexec_b32 s1, s0
	s_cbranch_execz .LBB0_25
; %bb.24:
	v_dual_add_f32 v32, v44, v45 :: v_dual_add_f32 v57, v31, v44
	v_dual_sub_f32 v38, v49, v42 :: v_dual_add_f32 v23, v23, v55
	v_mul_f32_e32 v48, 0xbf5db3d7, v52
	s_delay_alu instid0(VALU_DEP_3) | instskip(NEXT) | instid1(VALU_DEP_4)
	v_fma_f32 v31, -0.5, v32, v31
	v_add_f32_e32 v57, v57, v45
	v_mul_f32_e32 v56, 0xbf5db3d7, v53
	v_dual_add_f32 v21, v23, v21 :: v_dual_and_b32 v32, 0xffff, v39
	s_delay_alu instid0(VALU_DEP_4) | instskip(NEXT) | instid1(VALU_DEP_3)
	v_dual_fmac_f32 v48, -0.5, v50 :: v_dual_fmamk_f32 v55, v38, 0x3f5db3d7, v31
	v_dual_fmac_f32 v31, 0xbf5db3d7, v38 :: v_dual_fmac_f32 v56, 0.5, v51
	s_delay_alu instid0(VALU_DEP_3) | instskip(NEXT) | instid1(VALU_DEP_3)
	v_dual_sub_f32 v38, v57, v21 :: v_dual_lshlrev_b32 v23, 2, v32
	v_dual_sub_f32 v32, v55, v48 :: v_dual_add_f32 v21, v57, v21
	s_delay_alu instid0(VALU_DEP_3) | instskip(NEXT) | instid1(VALU_DEP_3)
	v_add_f32_e32 v58, v31, v56
	v_add3_u32 v23, v37, v23, v4
	v_add_f32_e32 v48, v55, v48
	v_sub_f32_e32 v31, v31, v56
	ds_store_2addr_b32 v23, v21, v58 offset1:10
	ds_store_2addr_b32 v23, v48, v38 offset0:20 offset1:30
	ds_store_2addr_b32 v23, v31, v32 offset0:40 offset1:50
.LBB0_25:
	s_or_b32 exec_lo, exec_lo, s1
	v_add_f32_e32 v21, v35, v20
	v_dual_add_f32 v23, v33, v35 :: v_dual_mul_f32 v38, 0.5, v14
	v_dual_sub_f32 v27, v27, v28 :: v_dual_add_f32 v28, v29, v30
	s_delay_alu instid0(VALU_DEP_3) | instskip(SKIP_2) | instid1(VALU_DEP_3)
	v_dual_fmac_f32 v33, -0.5, v21 :: v_dual_mul_f32 v48, -0.5, v12
	v_add_nc_u32_e32 v31, 0xe00, v0
	s_waitcnt lgkmcnt(0)
	v_add_f32_e32 v14, v28, v22
	v_add_f32_e32 v12, v23, v20
	v_dual_fmac_f32 v38, 0x3f5db3d7, v13 :: v_dual_fmamk_f32 v55, v27, 0x3f5db3d7, v33
	v_dual_add_f32 v13, v19, v18 :: v_dual_fmac_f32 v48, 0x3f5db3d7, v24
	s_delay_alu instid0(VALU_DEP_3) | instskip(SKIP_1) | instid1(VALU_DEP_3)
	v_dual_fmac_f32 v33, 0xbf5db3d7, v27 :: v_dual_add_f32 v56, v12, v14
	v_add_f32_e32 v19, v7, v19
	v_fmac_f32_e32 v7, -0.5, v13
	v_dual_sub_f32 v13, v25, v26 :: v_dual_add_f32 v16, v16, v17
	v_sub_f32_e32 v59, v12, v14
	v_add3_u32 v24, 0, v36, v4
	v_dual_mul_f32 v36, 0.5, v11 :: v_dual_mul_f32 v63, -0.5, v10
	s_delay_alu instid0(VALU_DEP_4) | instskip(SKIP_1) | instid1(VALU_DEP_4)
	v_dual_add_f32 v60, v19, v18 :: v_dual_fmamk_f32 v61, v13, 0x3f5db3d7, v7
	v_dual_add_f32 v62, v16, v15 :: v_dual_fmac_f32 v7, 0xbf5db3d7, v13
	v_add_nc_u32_e32 v26, 0x600, v24
	v_add_nc_u32_e32 v27, 0xa00, v24
	v_dual_fmac_f32 v36, 0x3f5db3d7, v54 :: v_dual_fmac_f32 v63, 0x3f5db3d7, v43
	v_dual_add_f32 v57, v55, v38 :: v_dual_add_f32 v58, v33, v48
	v_dual_add_f32 v43, v60, v62 :: v_dual_add_nc_u32 v28, 0x1200, v24
	v_dual_sub_f32 v38, v55, v38 :: v_dual_add_nc_u32 v25, 0x200, v24
	s_delay_alu instid0(VALU_DEP_4)
	v_dual_add_f32 v54, v7, v63 :: v_dual_add_nc_u32 v29, 0x1600, v24
	v_dual_sub_f32 v55, v60, v62 :: v_dual_add_nc_u32 v30, 0x1a00, v24
	s_barrier
	buffer_gl0_inv
	ds_load_b32 v32, v34
	ds_load_b32 v35, v0 offset:480
	ds_load_2addr_b32 v[22:23], v25 offset0:112 offset1:232
	ds_load_2addr_b32 v[18:19], v26 offset0:96 offset1:216
	;; [unrolled: 1-line block ×7, first 2 shown]
	v_sub_f32_e32 v33, v33, v48
	v_dual_add_f32 v48, v61, v36 :: v_dual_sub_f32 v7, v7, v63
	v_sub_f32_e32 v36, v61, v36
	s_waitcnt lgkmcnt(0)
	s_barrier
	buffer_gl0_inv
	ds_store_2addr_b32 v41, v56, v57 offset1:10
	ds_store_2addr_b32 v41, v58, v59 offset0:20 offset1:30
	ds_store_2addr_b32 v41, v38, v33 offset0:40 offset1:50
	ds_store_2addr_b32 v40, v43, v48 offset1:10
	ds_store_2addr_b32 v40, v54, v55 offset0:20 offset1:30
	ds_store_2addr_b32 v40, v36, v7 offset0:40 offset1:50
	s_and_saveexec_b32 s1, s0
	s_cbranch_execz .LBB0_27
; %bb.26:
	v_dual_add_f32 v7, v49, v42 :: v_dual_sub_f32 v36, v44, v45
	v_dual_add_f32 v33, v9, v49 :: v_dual_add_f32 v38, v46, v47
	s_delay_alu instid0(VALU_DEP_2) | instskip(SKIP_1) | instid1(VALU_DEP_3)
	v_dual_mul_f32 v40, -0.5, v52 :: v_dual_fmac_f32 v9, -0.5, v7
	v_mul_f32_e32 v7, 0.5, v53
	v_dual_add_f32 v33, v33, v42 :: v_dual_add_f32 v8, v38, v8
	v_and_b32_e32 v39, 0xffff, v39
	s_delay_alu instid0(VALU_DEP_4) | instskip(NEXT) | instid1(VALU_DEP_3)
	v_dual_fmamk_f32 v41, v36, 0x3f5db3d7, v9 :: v_dual_fmac_f32 v40, 0x3f5db3d7, v50
	v_dual_fmamk_f32 v9, v36, 0xbf5db3d7, v9 :: v_dual_add_f32 v38, v33, v8
	s_delay_alu instid0(VALU_DEP_3) | instskip(SKIP_1) | instid1(VALU_DEP_3)
	v_lshlrev_b32_e32 v36, 2, v39
	v_dual_sub_f32 v8, v33, v8 :: v_dual_fmac_f32 v7, 0x3f5db3d7, v51
	v_add_f32_e32 v42, v9, v40
	v_sub_f32_e32 v9, v9, v40
	s_delay_alu instid0(VALU_DEP_4) | instskip(NEXT) | instid1(VALU_DEP_4)
	v_add3_u32 v33, v37, v36, v4
	v_add_f32_e32 v39, v41, v7
	v_sub_f32_e32 v7, v41, v7
	ds_store_2addr_b32 v33, v38, v39 offset1:10
	ds_store_2addr_b32 v33, v42, v8 offset0:20 offset1:30
	ds_store_2addr_b32 v33, v7, v9 offset0:40 offset1:50
.LBB0_27:
	s_or_b32 exec_lo, exec_lo, s1
	v_subrev_nc_u32_e32 v7, 60, v3
	v_cmp_gt_u32_e64 s0, 60, v3
	v_mov_b32_e32 v8, 0
	s_waitcnt lgkmcnt(0)
	s_barrier
	buffer_gl0_inv
	v_cndmask_b32_e64 v9, v7, v3, s0
	s_delay_alu instid0(VALU_DEP_1) | instskip(NEXT) | instid1(VALU_DEP_1)
	v_mul_i32_i24_e32 v7, 15, v9
	v_lshlrev_b64 v[36:37], 3, v[7:8]
	s_delay_alu instid0(VALU_DEP_1) | instskip(NEXT) | instid1(VALU_DEP_1)
	v_add_co_u32 v64, s0, s8, v36
	v_add_co_ci_u32_e64 v65, s0, s9, v37, s0
	v_cmp_lt_u32_e64 s0, 59, v3
	s_clause 0x7
	global_load_b128 v[36:39], v[64:65], off offset:400
	global_load_b128 v[40:43], v[64:65], off offset:416
	;; [unrolled: 1-line block ×7, first 2 shown]
	global_load_b64 v[64:65], v[64:65], off offset:512
	v_cndmask_b32_e64 v7, 0, 0x3c0, s0
	s_delay_alu instid0(VALU_DEP_1)
	v_or_b32_e32 v7, v7, v9
	ds_load_b32 v9, v0 offset:480
	ds_load_2addr_b32 v[66:67], v25 offset0:112 offset1:232
	ds_load_b32 v33, v34
	ds_load_2addr_b32 v[68:69], v26 offset0:96 offset1:216
	ds_load_2addr_b32 v[70:71], v27 offset0:80 offset1:200
	;; [unrolled: 1-line block ×6, first 2 shown]
	s_waitcnt vmcnt(0) lgkmcnt(0)
	v_lshlrev_b32_e32 v7, 2, v7
	s_barrier
	buffer_gl0_inv
	v_add3_u32 v4, 0, v7, v4
	s_delay_alu instid0(VALU_DEP_1)
	v_add_nc_u32_e32 v7, 0x200, v4
	v_add_nc_u32_e32 v80, 0x400, v4
	;; [unrolled: 1-line block ×6, first 2 shown]
	v_mul_f32_e32 v85, v9, v37
	v_dual_mul_f32 v37, v35, v37 :: v_dual_mul_f32 v86, v66, v39
	v_mul_f32_e32 v39, v22, v39
	v_dual_mul_f32 v87, v67, v41 :: v_dual_mul_f32 v88, v68, v43
	v_mul_f32_e32 v43, v18, v43
	s_delay_alu instid0(VALU_DEP_4)
	v_fma_f32 v9, v9, v36, -v37
	v_fmac_f32_e32 v86, v22, v38
	v_fma_f32 v22, v66, v38, -v39
	v_dual_mul_f32 v38, v21, v49 :: v_dual_fmac_f32 v85, v35, v36
	v_mul_f32_e32 v35, v70, v47
	v_mul_f32_e32 v36, v20, v47
	;; [unrolled: 1-line block ×4, first 2 shown]
	v_dual_mul_f32 v41, v23, v41 :: v_dual_fmac_f32 v88, v18, v42
	v_fma_f32 v18, v68, v42, -v43
	v_dual_mul_f32 v42, v75, v57 :: v_dual_fmac_f32 v35, v20, v46
	v_fma_f32 v20, v70, v46, -v36
	v_mul_f32_e32 v36, v79, v65
	v_dual_mul_f32 v46, v11, v65 :: v_dual_fmac_f32 v39, v16, v50
	v_fma_f32 v16, v72, v50, -v47
	v_mul_f32_e32 v37, v71, v49
	v_dual_mul_f32 v89, v69, v45 :: v_dual_fmac_f32 v42, v15, v56
	v_mul_f32_e32 v45, v19, v45
	v_fmac_f32_e32 v87, v23, v40
	v_dual_mul_f32 v23, v73, v53 :: v_dual_fmac_f32 v36, v11, v64
	v_sub_f32_e32 v16, v33, v16
	v_fmac_f32_e32 v37, v21, v48
	v_mul_f32_e32 v49, v17, v53
	v_fma_f32 v40, v67, v40, -v41
	v_mul_f32_e32 v41, v74, v55
	s_delay_alu instid0(VALU_DEP_4)
	v_dual_mul_f32 v51, v14, v55 :: v_dual_sub_f32 v36, v37, v36
	v_mul_f32_e32 v53, v76, v59
	v_mul_f32_e32 v55, v12, v59
	;; [unrolled: 1-line block ×3, first 2 shown]
	v_fma_f32 v21, v71, v48, -v38
	v_sub_f32_e32 v38, v32, v39
	v_fma_f32 v33, v33, 2.0, -v16
	v_fmac_f32_e32 v89, v19, v44
	v_fma_f32 v44, v69, v44, -v45
	v_mul_f32_e32 v45, v78, v63
	v_fma_f32 v11, v79, v64, -v46
	v_fma_f32 v32, v32, 2.0, -v38
	s_delay_alu instid0(VALU_DEP_3) | instskip(SKIP_1) | instid1(VALU_DEP_1)
	v_fmac_f32_e32 v45, v10, v62
	v_fma_f32 v10, v78, v62, -v59
	v_sub_f32_e32 v10, v20, v10
	v_sub_f32_e32 v42, v87, v42
	v_fmac_f32_e32 v41, v14, v54
	v_fma_f32 v14, v74, v54, -v51
	s_delay_alu instid0(VALU_DEP_4) | instskip(NEXT) | instid1(VALU_DEP_2)
	v_fma_f32 v20, v20, 2.0, -v10
	v_sub_f32_e32 v14, v22, v14
	s_delay_alu instid0(VALU_DEP_1) | instskip(NEXT) | instid1(VALU_DEP_1)
	v_fma_f32 v22, v22, 2.0, -v14
	v_dual_mul_f32 v19, v77, v61 :: v_dual_sub_f32 v20, v22, v20
	s_delay_alu instid0(VALU_DEP_1) | instskip(SKIP_1) | instid1(VALU_DEP_1)
	v_fma_f32 v22, v22, 2.0, -v20
	v_sub_f32_e32 v41, v86, v41
	v_add_f32_e32 v10, v41, v10
	v_fmac_f32_e32 v53, v12, v58
	v_fma_f32 v12, v76, v58, -v55
	v_fma_f32 v46, v86, 2.0, -v41
	s_delay_alu instid0(VALU_DEP_4) | instskip(NEXT) | instid1(VALU_DEP_3)
	v_fma_f32 v41, v41, 2.0, -v10
	v_dual_sub_f32 v12, v18, v12 :: v_dual_mul_f32 v43, v15, v57
	s_delay_alu instid0(VALU_DEP_1) | instskip(SKIP_1) | instid1(VALU_DEP_3)
	v_fma_f32 v18, v18, 2.0, -v12
	v_add_f32_e32 v12, v38, v12
	v_fma_f32 v15, v75, v56, -v43
	s_delay_alu instid0(VALU_DEP_3) | instskip(NEXT) | instid1(VALU_DEP_3)
	v_sub_f32_e32 v18, v33, v18
	v_dual_fmamk_f32 v50, v10, 0x3f3504f3, v12 :: v_dual_sub_f32 v43, v35, v45
	v_fma_f32 v38, v38, 2.0, -v12
	s_delay_alu instid0(VALU_DEP_3) | instskip(NEXT) | instid1(VALU_DEP_3)
	v_fma_f32 v33, v33, 2.0, -v18
	v_fma_f32 v35, v35, 2.0, -v43
	s_delay_alu instid0(VALU_DEP_3) | instskip(NEXT) | instid1(VALU_DEP_2)
	v_dual_sub_f32 v43, v14, v43 :: v_dual_fmamk_f32 v54, v41, 0xbf3504f3, v38
	v_sub_f32_e32 v35, v46, v35
	s_delay_alu instid0(VALU_DEP_2)
	v_fma_f32 v14, v14, 2.0, -v43
	v_fmac_f32_e32 v23, v17, v52
	v_fma_f32 v17, v73, v52, -v49
	v_fma_f32 v49, v87, 2.0, -v42
	v_fmac_f32_e32 v50, 0x3f3504f3, v43
	v_fmac_f32_e32 v54, 0x3f3504f3, v14
	v_fma_f32 v37, v37, 2.0, -v36
	v_sub_f32_e32 v23, v85, v23
	v_sub_f32_e32 v11, v21, v11
	v_fma_f32 v46, v46, 2.0, -v35
	v_sub_f32_e32 v35, v18, v35
	v_sub_f32_e32 v37, v49, v37
	;; [unrolled: 1-line block ×3, first 2 shown]
	v_fma_f32 v47, v85, 2.0, -v23
	v_fma_f32 v21, v21, 2.0, -v11
	v_sub_f32_e32 v17, v9, v17
	v_fma_f32 v49, v49, 2.0, -v37
	v_fmac_f32_e32 v19, v13, v60
	v_fma_f32 v40, v40, 2.0, -v15
	v_sub_f32_e32 v36, v15, v36
	v_fma_f32 v9, v9, 2.0, -v17
	v_fma_f32 v12, v12, 2.0, -v50
	v_sub_f32_e32 v19, v89, v19
	v_sub_f32_e32 v21, v40, v21
	v_fma_f32 v38, v38, 2.0, -v54
	v_fma_f32 v18, v18, 2.0, -v35
	s_delay_alu instid0(VALU_DEP_4) | instskip(SKIP_2) | instid1(VALU_DEP_3)
	v_fma_f32 v48, v89, 2.0, -v19
	v_mul_f32_e32 v57, v13, v61
	v_fma_f32 v40, v40, 2.0, -v21
	v_sub_f32_e32 v48, v47, v48
	s_delay_alu instid0(VALU_DEP_3) | instskip(NEXT) | instid1(VALU_DEP_2)
	v_fma_f32 v13, v77, v60, -v57
	v_add_f32_e32 v21, v48, v21
	s_delay_alu instid0(VALU_DEP_2) | instskip(SKIP_2) | instid1(VALU_DEP_3)
	v_sub_f32_e32 v13, v44, v13
	v_add_f32_e32 v11, v42, v11
	v_fma_f32 v47, v47, 2.0, -v48
	v_fma_f32 v44, v44, 2.0, -v13
	v_add_f32_e32 v13, v23, v13
	s_delay_alu instid0(VALU_DEP_4) | instskip(NEXT) | instid1(VALU_DEP_3)
	v_fma_f32 v42, v42, 2.0, -v11
	v_sub_f32_e32 v44, v9, v44
	s_delay_alu instid0(VALU_DEP_3) | instskip(SKIP_1) | instid1(VALU_DEP_3)
	v_fmamk_f32 v52, v11, 0x3f3504f3, v13
	v_fma_f32 v23, v23, 2.0, -v13
	v_sub_f32_e32 v37, v44, v37
	s_delay_alu instid0(VALU_DEP_3) | instskip(SKIP_2) | instid1(VALU_DEP_3)
	v_dual_sub_f32 v19, v17, v19 :: v_dual_fmac_f32 v52, 0x3f3504f3, v36
	v_sub_f32_e32 v39, v88, v53
	v_fma_f32 v9, v9, 2.0, -v44
	v_fmamk_f32 v53, v36, 0x3f3504f3, v19
	s_delay_alu instid0(VALU_DEP_4) | instskip(NEXT) | instid1(VALU_DEP_4)
	v_fma_f32 v13, v13, 2.0, -v52
	v_fma_f32 v45, v88, 2.0, -v39
	s_delay_alu instid0(VALU_DEP_3) | instskip(NEXT) | instid1(VALU_DEP_3)
	v_dual_sub_f32 v40, v9, v40 :: v_dual_fmac_f32 v53, 0xbf3504f3, v11
	v_dual_sub_f32 v39, v16, v39 :: v_dual_fmamk_f32 v56, v13, 0xbec3ef15, v12
	s_delay_alu instid0(VALU_DEP_3) | instskip(NEXT) | instid1(VALU_DEP_3)
	v_sub_f32_e32 v45, v32, v45
	v_fma_f32 v9, v9, 2.0, -v40
	s_delay_alu instid0(VALU_DEP_3) | instskip(NEXT) | instid1(VALU_DEP_3)
	v_fmamk_f32 v51, v43, 0x3f3504f3, v39
	v_fma_f32 v32, v32, 2.0, -v45
	s_delay_alu instid0(VALU_DEP_2) | instskip(NEXT) | instid1(VALU_DEP_2)
	v_dual_add_f32 v20, v45, v20 :: v_dual_fmac_f32 v51, 0xbf3504f3, v10
	v_dual_fmamk_f32 v10, v42, 0xbf3504f3, v23 :: v_dual_sub_f32 v11, v32, v46
	s_delay_alu instid0(VALU_DEP_2) | instskip(SKIP_1) | instid1(VALU_DEP_3)
	v_fmamk_f32 v46, v53, 0x3f6c835e, v51
	v_fma_f32 v16, v16, 2.0, -v39
	v_add_f32_e32 v40, v11, v40
	v_fma_f32 v17, v17, 2.0, -v19
	v_fma_f32 v39, v39, 2.0, -v51
	;; [unrolled: 1-line block ×3, first 2 shown]
	v_fmamk_f32 v55, v14, 0xbf3504f3, v16
	v_fma_f32 v11, v11, 2.0, -v40
	v_fmac_f32_e32 v46, 0xbec3ef15, v52
	s_delay_alu instid0(VALU_DEP_3)
	v_fmac_f32_e32 v55, 0xbf3504f3, v41
	v_fma_f32 v41, v44, 2.0, -v37
	v_fmamk_f32 v44, v37, 0x3f3504f3, v35
	v_fma_f32 v15, v15, 2.0, -v36
	v_sub_f32_e32 v36, v33, v22
	v_sub_f32_e32 v22, v47, v49
	v_fma_f32 v16, v16, 2.0, -v55
	v_fmamk_f32 v49, v41, 0xbf3504f3, v18
	v_fmamk_f32 v43, v15, 0xbf3504f3, v17
	v_fmac_f32_e32 v10, 0x3f3504f3, v15
	v_fma_f32 v15, v48, 2.0, -v21
	v_fma_f32 v33, v33, 2.0, -v36
	;; [unrolled: 1-line block ×3, first 2 shown]
	v_fmac_f32_e32 v43, 0xbf3504f3, v42
	v_fmamk_f32 v42, v21, 0x3f3504f3, v20
	v_fma_f32 v23, v23, 2.0, -v10
	v_sub_f32_e32 v58, v36, v22
	v_fmamk_f32 v22, v10, 0x3ec3ef15, v54
	v_fma_f32 v17, v17, 2.0, -v43
	v_fmac_f32_e32 v42, 0x3f3504f3, v37
	v_fma_f32 v19, v19, 2.0, -v53
	v_fmamk_f32 v59, v43, 0x3ec3ef15, v55
	v_sub_f32_e32 v37, v33, v9
	v_fmamk_f32 v9, v23, 0xbf6c835e, v38
	v_fmac_f32_e32 v44, 0xbf3504f3, v21
	v_fmac_f32_e32 v56, 0x3f6c835e, v19
	v_fma_f32 v14, v45, 2.0, -v20
	v_fmamk_f32 v45, v52, 0x3f6c835e, v50
	v_fmamk_f32 v57, v19, 0xbec3ef15, v39
	v_sub_f32_e32 v21, v32, v47
	v_fmamk_f32 v47, v17, 0xbf6c835e, v16
	v_fmamk_f32 v48, v15, 0xbf3504f3, v14
	v_fmac_f32_e32 v45, 0x3ec3ef15, v53
	v_fmac_f32_e32 v22, 0x3f6c835e, v43
	;; [unrolled: 1-line block ×5, first 2 shown]
	v_fma_f32 v10, v20, 2.0, -v42
	v_fma_f32 v13, v50, 2.0, -v45
	v_fmac_f32_e32 v9, 0x3ec3ef15, v17
	v_fmac_f32_e32 v49, 0xbf3504f3, v15
	;; [unrolled: 1-line block ×3, first 2 shown]
	v_fma_f32 v14, v14, 2.0, -v48
	v_fma_f32 v12, v12, 2.0, -v56
	;; [unrolled: 1-line block ×3, first 2 shown]
	ds_store_2addr_b32 v84, v42, v45 offset0:72 offset1:132
	v_fma_f32 v15, v32, 2.0, -v21
	ds_store_2addr_b32 v80, v10, v13 offset0:104 offset1:164
	ds_store_2addr_b32 v82, v48, v56 offset0:88 offset1:148
	;; [unrolled: 1-line block ×3, first 2 shown]
	v_fma_f32 v10, v38, 2.0, -v9
	v_fma_f32 v32, v33, 2.0, -v37
	v_fma_f32 v33, v18, 2.0, -v49
	v_fma_f32 v38, v16, 2.0, -v47
	ds_store_2addr_b32 v4, v14, v12 offset0:120 offset1:180
	ds_store_2addr_b32 v7, v11, v17 offset0:112 offset1:172
	ds_store_2addr_b32 v81, v21, v9 offset0:96 offset1:156
	ds_store_2addr_b32 v4, v15, v10 offset1:60
	s_waitcnt lgkmcnt(0)
	s_barrier
	buffer_gl0_inv
	ds_load_2addr_b32 v[15:16], v31 offset0:64 offset1:184
	ds_load_b32 v31, v34
	ds_load_b32 v23, v0 offset:480
	ds_load_2addr_b32 v[9:10], v25 offset0:112 offset1:232
	ds_load_2addr_b32 v[17:18], v28 offset0:48 offset1:168
	;; [unrolled: 1-line block ×6, first 2 shown]
	v_fma_f32 v25, v39, 2.0, -v57
	v_fma_f32 v26, v36, 2.0, -v58
	;; [unrolled: 1-line block ×5, first 2 shown]
	s_waitcnt lgkmcnt(0)
	s_barrier
	buffer_gl0_inv
	ds_store_2addr_b32 v4, v32, v38 offset1:60
	ds_store_2addr_b32 v4, v33, v25 offset0:120 offset1:180
	ds_store_2addr_b32 v7, v26, v27 offset0:112 offset1:172
	;; [unrolled: 1-line block ×7, first 2 shown]
	s_waitcnt lgkmcnt(0)
	s_barrier
	buffer_gl0_inv
	s_and_saveexec_b32 s0, vcc_lo
	s_cbranch_execz .LBB0_29
; %bb.28:
	v_dual_mov_b32 v26, v8 :: v_dual_add_nc_u32 v7, 0x348, v3
	v_dual_mov_b32 v30, v8 :: v_dual_add_nc_u32 v25, 0x2d0, v3
	;; [unrolled: 1-line block ×3, first 2 shown]
	s_delay_alu instid0(VALU_DEP_3) | instskip(NEXT) | instid1(VALU_DEP_3)
	v_lshlrev_b64 v[27:28], 3, v[7:8]
	v_lshlrev_b64 v[25:26], 3, v[25:26]
	v_mul_lo_u32 v55, s3, v5
	v_mul_lo_u32 v56, s2, v6
	v_add_nc_u32_e32 v60, 0x258, v3
	v_add_nc_u32_e32 v62, 0x348, v3
	v_add_co_u32 v7, vcc_lo, s8, v27
	v_add_co_ci_u32_e32 v32, vcc_lo, s9, v28, vcc_lo
	v_lshlrev_b64 v[27:28], 3, v[29:30]
	s_delay_alu instid0(VALU_DEP_3) | instskip(NEXT) | instid1(VALU_DEP_3)
	v_add_co_u32 v29, vcc_lo, 0x1000, v7
	v_add_co_ci_u32_e32 v30, vcc_lo, 0, v32, vcc_lo
	v_add_co_u32 v7, vcc_lo, s8, v25
	v_add_co_ci_u32_e32 v32, vcc_lo, s9, v26, vcc_lo
	global_load_b64 v[25:26], v[29:30], off offset:3504
	v_add_co_u32 v29, vcc_lo, 0x1000, v7
	v_add_co_ci_u32_e32 v30, vcc_lo, 0, v32, vcc_lo
	v_lshlrev_b64 v[32:33], 3, v[3:4]
	v_add_co_u32 v4, vcc_lo, s8, v27
	v_add_co_ci_u32_e32 v7, vcc_lo, s9, v28, vcc_lo
	v_add_nc_u32_e32 v43, 0x1a00, v24
	s_delay_alu instid0(VALU_DEP_4) | instskip(SKIP_3) | instid1(VALU_DEP_4)
	v_add_co_u32 v35, vcc_lo, s8, v32
	v_add_co_ci_u32_e32 v36, vcc_lo, s9, v33, vcc_lo
	v_add_co_u32 v27, vcc_lo, 0x1000, v4
	v_add_co_ci_u32_e32 v28, vcc_lo, 0, v7, vcc_lo
	v_add_co_u32 v32, vcc_lo, 0x2000, v35
	s_delay_alu instid0(VALU_DEP_4)
	v_add_co_ci_u32_e32 v33, vcc_lo, 0, v36, vcc_lo
	v_add_co_u32 v35, vcc_lo, 0x1000, v35
	v_add_co_ci_u32_e32 v36, vcc_lo, 0, v36, vcc_lo
	s_clause 0x6
	global_load_b64 v[29:30], v[29:30], off offset:3504
	global_load_b64 v[27:28], v[27:28], off offset:3504
	;; [unrolled: 1-line block ×7, first 2 shown]
	v_add_nc_u32_e32 v4, 0xa00, v24
	v_add_nc_u32_e32 v45, 0x600, v24
	;; [unrolled: 1-line block ×5, first 2 shown]
	v_mad_u64_u32 v[6:7], null, s2, v5, 0
	v_add_nc_u32_e32 v24, 0x1200, v24
	ds_load_b32 v81, v0 offset:480
	ds_load_b32 v82, v34
	v_mul_hi_u32 v34, 0x88888889, v3
	v_lshlrev_b64 v[0:1], 3, v[1:2]
	v_add_nc_u32_e32 v57, 0xf0, v3
	v_add_nc_u32_e32 v58, 0x168, v3
	v_add3_u32 v7, v7, v56, v55
	v_add_nc_u32_e32 v61, 0x2d0, v3
	v_mul_hi_u32 v55, 0x88888889, v60
	v_mul_hi_u32 v63, 0x88888889, v57
	v_lshrrev_b32_e32 v34, 9, v34
	v_lshlrev_b64 v[6:7], 3, v[6:7]
	v_mul_hi_u32 v64, 0x88888889, v58
	v_mul_hi_u32 v56, 0x88888889, v61
	;; [unrolled: 1-line block ×3, first 2 shown]
	v_mul_u32_u24_e32 v34, 0x3c0, v34
	v_lshrrev_b32_e32 v71, 9, v55
	v_add_co_u32 v6, vcc_lo, s6, v6
	v_lshrrev_b32_e32 v63, 9, v63
	v_add_co_ci_u32_e32 v7, vcc_lo, s7, v7, vcc_lo
	s_delay_alu instid0(VALU_DEP_3) | instskip(SKIP_1) | instid1(VALU_DEP_4)
	v_add_co_u32 v83, vcc_lo, v6, v0
	v_lshrrev_b32_e32 v64, 9, v64
	v_mul_u32_u24_e32 v55, 0x3c0, v63
	s_delay_alu instid0(VALU_DEP_4) | instskip(SKIP_1) | instid1(VALU_DEP_4)
	v_add_co_ci_u32_e32 v84, vcc_lo, v7, v1, vcc_lo
	v_lshrrev_b32_e32 v75, 9, v56
	v_mul_u32_u24_e32 v56, 0x3c0, v64
	v_lshrrev_b32_e32 v79, 9, v66
	v_mul_u32_u24_e32 v66, 0x3c0, v71
	s_delay_alu instid0(VALU_DEP_4) | instskip(NEXT) | instid1(VALU_DEP_4)
	v_mul_u32_u24_e32 v68, 0x3c0, v75
	v_sub_nc_u32_e32 v70, v58, v56
	s_delay_alu instid0(VALU_DEP_4) | instskip(NEXT) | instid1(VALU_DEP_4)
	v_mul_u32_u24_e32 v69, 0x3c0, v79
	v_sub_nc_u32_e32 v73, v60, v66
	s_delay_alu instid0(VALU_DEP_4) | instskip(NEXT) | instid1(VALU_DEP_3)
	v_sub_nc_u32_e32 v76, v61, v68
	v_sub_nc_u32_e32 v80, v62, v69
	s_waitcnt vmcnt(1)
	v_mul_f32_e32 v85, v17, v42
	ds_load_2addr_b32 v[4:5], v4 offset0:80 offset1:200
	ds_load_2addr_b32 v[43:44], v43 offset0:16 offset1:136
	;; [unrolled: 1-line block ×7, first 2 shown]
	v_add_nc_u32_e32 v2, 0x78, v3
	v_add_nc_u32_e32 v59, 0x1e0, v3
	v_sub_nc_u32_e32 v3, v3, v34
	s_delay_alu instid0(VALU_DEP_3) | instskip(NEXT) | instid1(VALU_DEP_2)
	v_mul_hi_u32 v24, 0x88888889, v2
	v_lshlrev_b32_e32 v3, 3, v3
	s_delay_alu instid0(VALU_DEP_1) | instskip(NEXT) | instid1(VALU_DEP_3)
	v_add_co_u32 v0, vcc_lo, v83, v3
	v_lshrrev_b32_e32 v24, 9, v24
	v_add_co_ci_u32_e32 v1, vcc_lo, 0, v84, vcc_lo
	s_waitcnt lgkmcnt(1)
	v_mul_f32_e32 v42, v51, v42
	s_delay_alu instid0(VALU_DEP_3) | instskip(NEXT) | instid1(VALU_DEP_1)
	v_mul_u32_u24_e32 v34, 0x3c0, v24
	v_sub_nc_u32_e32 v2, v2, v34
	v_sub_nc_u32_e32 v34, v57, v55
	v_add_co_u32 v55, vcc_lo, 0x1000, v0
	v_add_co_ci_u32_e32 v56, vcc_lo, 0, v1, vcc_lo
	s_delay_alu instid0(VALU_DEP_4) | instskip(SKIP_1) | instid1(VALU_DEP_2)
	v_mad_u32_u24 v7, 0x780, v24, v2
	v_mul_f32_e32 v24, v44, v26
	v_lshlrev_b64 v[2:3], 3, v[7:8]
	s_delay_alu instid0(VALU_DEP_2) | instskip(NEXT) | instid1(VALU_DEP_1)
	v_dual_fmac_f32 v24, v22, v25 :: v_dual_add_nc_u32 v7, 0x3c0, v7
	v_lshlrev_b64 v[57:58], 3, v[7:8]
	v_mad_u32_u24 v7, 0x780, v63, v34
	v_mul_f32_e32 v34, v20, v28
	v_mul_f32_e32 v28, v48, v28
	v_mul_hi_u32 v65, 0x88888889, v59
	v_add_co_u32 v2, vcc_lo, v83, v2
	v_add_co_ci_u32_e32 v3, vcc_lo, v84, v3, vcc_lo
	v_add_co_u32 v57, vcc_lo, v83, v57
	v_add_co_ci_u32_e32 v58, vcc_lo, v84, v58, vcc_lo
	v_lshrrev_b32_e32 v67, 9, v65
	s_delay_alu instid0(VALU_DEP_1) | instskip(NEXT) | instid1(VALU_DEP_1)
	v_mul_u32_u24_e32 v65, 0x3c0, v67
	v_sub_nc_u32_e32 v72, v59, v65
	v_lshlrev_b64 v[59:60], 3, v[7:8]
	v_add_nc_u32_e32 v7, 0x3c0, v7
	s_delay_alu instid0(VALU_DEP_1) | instskip(SKIP_1) | instid1(VALU_DEP_4)
	v_lshlrev_b64 v[61:62], 3, v[7:8]
	v_mad_u32_u24 v7, 0x780, v64, v70
	v_add_co_u32 v59, vcc_lo, v83, v59
	v_add_co_ci_u32_e32 v60, vcc_lo, v84, v60, vcc_lo
	s_delay_alu instid0(VALU_DEP_3) | instskip(SKIP_3) | instid1(VALU_DEP_3)
	v_lshlrev_b64 v[63:64], 3, v[7:8]
	v_add_nc_u32_e32 v7, 0x3c0, v7
	v_add_co_u32 v61, vcc_lo, v83, v61
	v_add_co_ci_u32_e32 v62, vcc_lo, v84, v62, vcc_lo
	v_lshlrev_b64 v[65:66], 3, v[7:8]
	v_mad_u32_u24 v7, 0x780, v67, v72
	v_add_co_u32 v63, vcc_lo, v83, v63
	v_add_co_ci_u32_e32 v64, vcc_lo, v84, v64, vcc_lo
	s_delay_alu instid0(VALU_DEP_3) | instskip(SKIP_3) | instid1(VALU_DEP_3)
	v_lshlrev_b64 v[67:68], 3, v[7:8]
	v_add_nc_u32_e32 v7, 0x3c0, v7
	v_add_co_u32 v65, vcc_lo, v83, v65
	v_add_co_ci_u32_e32 v66, vcc_lo, v84, v66, vcc_lo
	v_lshlrev_b64 v[69:70], 3, v[7:8]
	v_mad_u32_u24 v7, 0x780, v71, v73
	v_add_co_u32 v67, vcc_lo, v83, v67
	v_add_co_ci_u32_e32 v68, vcc_lo, v84, v68, vcc_lo
	s_delay_alu instid0(VALU_DEP_3) | instskip(SKIP_3) | instid1(VALU_DEP_3)
	v_lshlrev_b64 v[71:72], 3, v[7:8]
	v_add_nc_u32_e32 v7, 0x3c0, v7
	v_add_co_u32 v69, vcc_lo, v83, v69
	v_add_co_ci_u32_e32 v70, vcc_lo, v84, v70, vcc_lo
	v_lshlrev_b64 v[73:74], 3, v[7:8]
	v_mad_u32_u24 v7, 0x780, v75, v76
	v_add_co_u32 v71, vcc_lo, v83, v71
	v_add_co_ci_u32_e32 v72, vcc_lo, v84, v72, vcc_lo
	s_delay_alu instid0(VALU_DEP_3) | instskip(SKIP_3) | instid1(VALU_DEP_3)
	v_lshlrev_b64 v[75:76], 3, v[7:8]
	v_add_nc_u32_e32 v7, 0x3c0, v7
	v_add_co_u32 v73, vcc_lo, v83, v73
	v_add_co_ci_u32_e32 v74, vcc_lo, v84, v74, vcc_lo
	v_lshlrev_b64 v[77:78], 3, v[7:8]
	v_mad_u32_u24 v7, 0x780, v79, v80
	v_add_co_u32 v75, vcc_lo, v83, v75
	v_add_co_ci_u32_e32 v76, vcc_lo, v84, v76, vcc_lo
	s_delay_alu instid0(VALU_DEP_3) | instskip(SKIP_3) | instid1(VALU_DEP_3)
	v_lshlrev_b64 v[79:80], 3, v[7:8]
	v_add_nc_u32_e32 v7, 0x3c0, v7
	v_add_co_u32 v77, vcc_lo, v83, v77
	v_add_co_ci_u32_e32 v78, vcc_lo, v84, v78, vcc_lo
	v_lshlrev_b64 v[6:7], 3, v[7:8]
	v_add_co_u32 v79, vcc_lo, v83, v79
	v_mul_f32_e32 v8, v22, v26
	v_mul_f32_e32 v26, v21, v30
	v_add_co_ci_u32_e32 v80, vcc_lo, v84, v80, vcc_lo
	v_add_co_u32 v6, vcc_lo, v83, v6
	v_mul_f32_e32 v30, v43, v30
	v_mul_f32_e32 v83, v19, v38
	;; [unrolled: 1-line block ×3, first 2 shown]
	v_add_co_ci_u32_e32 v7, vcc_lo, v84, v7, vcc_lo
	v_mul_f32_e32 v84, v18, v40
	v_fma_f32 v8, v44, v25, -v8
	s_delay_alu instid0(VALU_DEP_4)
	v_fmac_f32_e32 v38, v19, v37
	s_waitcnt vmcnt(0)
	v_mul_f32_e32 v22, v16, v33
	s_waitcnt lgkmcnt(0)
	v_mul_f32_e32 v33, v54, v33
	v_fma_f32 v25, v43, v29, -v26
	v_mul_f32_e32 v26, v15, v36
	v_mul_f32_e32 v36, v53, v36
	;; [unrolled: 1-line block ×3, first 2 shown]
	v_fmac_f32_e32 v30, v21, v29
	v_fma_f32 v21, v48, v27, -v34
	v_fmac_f32_e32 v28, v20, v27
	v_fma_f32 v27, v47, v37, -v83
	v_fma_f32 v29, v52, v39, -v84
	;; [unrolled: 1-line block ×3, first 2 shown]
	v_fmac_f32_e32 v33, v16, v32
	v_fma_f32 v32, v53, v35, -v26
	v_fmac_f32_e32 v36, v15, v35
	v_dual_sub_f32 v20, v46, v21 :: v_dual_sub_f32 v21, v11, v38
	v_dual_fmac_f32 v40, v18, v39 :: v_dual_sub_f32 v19, v12, v28
	v_fma_f32 v34, v51, v41, -v85
	v_fmac_f32_e32 v42, v17, v41
	v_sub_f32_e32 v18, v4, v25
	v_sub_f32_e32 v25, v50, v29
	v_dual_sub_f32 v28, v23, v33 :: v_dual_sub_f32 v33, v82, v32
	v_sub_f32_e32 v32, v31, v36
	v_sub_f32_e32 v15, v14, v24
	v_dual_sub_f32 v24, v10, v40 :: v_dual_sub_f32 v29, v81, v37
	v_sub_f32_e32 v22, v45, v27
	v_sub_f32_e32 v27, v49, v34
	;; [unrolled: 1-line block ×5, first 2 shown]
	v_fma_f32 v39, v82, 2.0, -v33
	v_fma_f32 v38, v31, 2.0, -v32
	;; [unrolled: 1-line block ×16, first 2 shown]
	s_clause 0xf
	global_store_b64 v[0:1], v[38:39], off
	global_store_b64 v[55:56], v[32:33], off offset:3584
	global_store_b64 v[2:3], v[30:31], off
	global_store_b64 v[57:58], v[28:29], off
	;; [unrolled: 1-line block ×14, first 2 shown]
.LBB0_29:
	s_nop 0
	s_sendmsg sendmsg(MSG_DEALLOC_VGPRS)
	s_endpgm
	.section	.rodata,"a",@progbits
	.p2align	6, 0x0
	.amdhsa_kernel fft_rtc_back_len1920_factors_10_6_16_2_wgs_240_tpt_120_halfLds_sp_op_CI_CI_unitstride_sbrr_dirReg
		.amdhsa_group_segment_fixed_size 0
		.amdhsa_private_segment_fixed_size 0
		.amdhsa_kernarg_size 104
		.amdhsa_user_sgpr_count 15
		.amdhsa_user_sgpr_dispatch_ptr 0
		.amdhsa_user_sgpr_queue_ptr 0
		.amdhsa_user_sgpr_kernarg_segment_ptr 1
		.amdhsa_user_sgpr_dispatch_id 0
		.amdhsa_user_sgpr_private_segment_size 0
		.amdhsa_wavefront_size32 1
		.amdhsa_uses_dynamic_stack 0
		.amdhsa_enable_private_segment 0
		.amdhsa_system_sgpr_workgroup_id_x 1
		.amdhsa_system_sgpr_workgroup_id_y 0
		.amdhsa_system_sgpr_workgroup_id_z 0
		.amdhsa_system_sgpr_workgroup_info 0
		.amdhsa_system_vgpr_workitem_id 0
		.amdhsa_next_free_vgpr 90
		.amdhsa_next_free_sgpr 27
		.amdhsa_reserve_vcc 1
		.amdhsa_float_round_mode_32 0
		.amdhsa_float_round_mode_16_64 0
		.amdhsa_float_denorm_mode_32 3
		.amdhsa_float_denorm_mode_16_64 3
		.amdhsa_dx10_clamp 1
		.amdhsa_ieee_mode 1
		.amdhsa_fp16_overflow 0
		.amdhsa_workgroup_processor_mode 1
		.amdhsa_memory_ordered 1
		.amdhsa_forward_progress 0
		.amdhsa_shared_vgpr_count 0
		.amdhsa_exception_fp_ieee_invalid_op 0
		.amdhsa_exception_fp_denorm_src 0
		.amdhsa_exception_fp_ieee_div_zero 0
		.amdhsa_exception_fp_ieee_overflow 0
		.amdhsa_exception_fp_ieee_underflow 0
		.amdhsa_exception_fp_ieee_inexact 0
		.amdhsa_exception_int_div_zero 0
	.end_amdhsa_kernel
	.text
.Lfunc_end0:
	.size	fft_rtc_back_len1920_factors_10_6_16_2_wgs_240_tpt_120_halfLds_sp_op_CI_CI_unitstride_sbrr_dirReg, .Lfunc_end0-fft_rtc_back_len1920_factors_10_6_16_2_wgs_240_tpt_120_halfLds_sp_op_CI_CI_unitstride_sbrr_dirReg
                                        ; -- End function
	.section	.AMDGPU.csdata,"",@progbits
; Kernel info:
; codeLenInByte = 10124
; NumSgprs: 29
; NumVgprs: 90
; ScratchSize: 0
; MemoryBound: 0
; FloatMode: 240
; IeeeMode: 1
; LDSByteSize: 0 bytes/workgroup (compile time only)
; SGPRBlocks: 3
; VGPRBlocks: 11
; NumSGPRsForWavesPerEU: 29
; NumVGPRsForWavesPerEU: 90
; Occupancy: 16
; WaveLimiterHint : 1
; COMPUTE_PGM_RSRC2:SCRATCH_EN: 0
; COMPUTE_PGM_RSRC2:USER_SGPR: 15
; COMPUTE_PGM_RSRC2:TRAP_HANDLER: 0
; COMPUTE_PGM_RSRC2:TGID_X_EN: 1
; COMPUTE_PGM_RSRC2:TGID_Y_EN: 0
; COMPUTE_PGM_RSRC2:TGID_Z_EN: 0
; COMPUTE_PGM_RSRC2:TIDIG_COMP_CNT: 0
	.text
	.p2alignl 7, 3214868480
	.fill 96, 4, 3214868480
	.type	__hip_cuid_4a6028acac79699e,@object ; @__hip_cuid_4a6028acac79699e
	.section	.bss,"aw",@nobits
	.globl	__hip_cuid_4a6028acac79699e
__hip_cuid_4a6028acac79699e:
	.byte	0                               ; 0x0
	.size	__hip_cuid_4a6028acac79699e, 1

	.ident	"AMD clang version 19.0.0git (https://github.com/RadeonOpenCompute/llvm-project roc-6.4.0 25133 c7fe45cf4b819c5991fe208aaa96edf142730f1d)"
	.section	".note.GNU-stack","",@progbits
	.addrsig
	.addrsig_sym __hip_cuid_4a6028acac79699e
	.amdgpu_metadata
---
amdhsa.kernels:
  - .args:
      - .actual_access:  read_only
        .address_space:  global
        .offset:         0
        .size:           8
        .value_kind:     global_buffer
      - .offset:         8
        .size:           8
        .value_kind:     by_value
      - .actual_access:  read_only
        .address_space:  global
        .offset:         16
        .size:           8
        .value_kind:     global_buffer
      - .actual_access:  read_only
        .address_space:  global
        .offset:         24
        .size:           8
        .value_kind:     global_buffer
      - .actual_access:  read_only
        .address_space:  global
        .offset:         32
        .size:           8
        .value_kind:     global_buffer
      - .offset:         40
        .size:           8
        .value_kind:     by_value
      - .actual_access:  read_only
        .address_space:  global
        .offset:         48
        .size:           8
        .value_kind:     global_buffer
      - .actual_access:  read_only
        .address_space:  global
        .offset:         56
        .size:           8
        .value_kind:     global_buffer
      - .offset:         64
        .size:           4
        .value_kind:     by_value
      - .actual_access:  read_only
        .address_space:  global
        .offset:         72
        .size:           8
        .value_kind:     global_buffer
      - .actual_access:  read_only
        .address_space:  global
        .offset:         80
        .size:           8
        .value_kind:     global_buffer
      - .actual_access:  read_only
        .address_space:  global
        .offset:         88
        .size:           8
        .value_kind:     global_buffer
      - .actual_access:  write_only
        .address_space:  global
        .offset:         96
        .size:           8
        .value_kind:     global_buffer
    .group_segment_fixed_size: 0
    .kernarg_segment_align: 8
    .kernarg_segment_size: 104
    .language:       OpenCL C
    .language_version:
      - 2
      - 0
    .max_flat_workgroup_size: 240
    .name:           fft_rtc_back_len1920_factors_10_6_16_2_wgs_240_tpt_120_halfLds_sp_op_CI_CI_unitstride_sbrr_dirReg
    .private_segment_fixed_size: 0
    .sgpr_count:     29
    .sgpr_spill_count: 0
    .symbol:         fft_rtc_back_len1920_factors_10_6_16_2_wgs_240_tpt_120_halfLds_sp_op_CI_CI_unitstride_sbrr_dirReg.kd
    .uniform_work_group_size: 1
    .uses_dynamic_stack: false
    .vgpr_count:     90
    .vgpr_spill_count: 0
    .wavefront_size: 32
    .workgroup_processor_mode: 1
amdhsa.target:   amdgcn-amd-amdhsa--gfx1100
amdhsa.version:
  - 1
  - 2
...

	.end_amdgpu_metadata
